;; amdgpu-corpus repo=ROCm/aiter kind=harvested arch=n/a opt=n/a

/root/src/amdgpu-assembly/repos/ROCm__aiter/hsa/gfx942/topk_per_row_decode/asm_top_k_per_row_decode.co:	file format elf64-amdgpu

Disassembly of section .text:

0000000000001800 <.text>:
	s_nop 0                                                    // 000000001800: BF800000
	s_nop 0                                                    // 000000001804: BF800000
	;; [unrolled: 1-line block ×3, first 2 shown]
	s_nop 0                                                    // 00000000180C: BF800000
	s_nop 0                                                    // 000000001810: BF800000
	s_nop 0                                                    // 000000001814: BF800000
	;; [unrolled: 1-line block ×3, first 2 shown]
	s_nop 0                                                    // 00000000181C: BF800000
	s_nop 0                                                    // 000000001820: BF800000
	s_nop 0                                                    // 000000001824: BF800000
	;; [unrolled: 1-line block ×3, first 2 shown]
	s_nop 0                                                    // 00000000182C: BF800000
	s_nop 0                                                    // 000000001830: BF800000
	s_nop 0                                                    // 000000001834: BF800000
	;; [unrolled: 1-line block ×3, first 2 shown]
	s_nop 0                                                    // 00000000183C: BF800000
	s_nop 0                                                    // 000000001840: BF800000
	s_nop 0                                                    // 000000001844: BF800000
	;; [unrolled: 1-line block ×3, first 2 shown]
	s_nop 0                                                    // 00000000184C: BF800000
	s_nop 0                                                    // 000000001850: BF800000
	s_nop 0                                                    // 000000001854: BF800000
	s_nop 0                                                    // 000000001858: BF800000
	s_nop 0                                                    // 00000000185C: BF800000
	s_nop 0                                                    // 000000001860: BF800000
	s_nop 0                                                    // 000000001864: BF800000
	;; [unrolled: 1-line block ×3, first 2 shown]
	s_nop 0                                                    // 00000000186C: BF800000
	s_nop 0                                                    // 000000001870: BF800000
	s_nop 0                                                    // 000000001874: BF800000
	;; [unrolled: 1-line block ×3, first 2 shown]
	s_nop 0                                                    // 00000000187C: BF800000
	s_nop 0                                                    // 000000001880: BF800000
	s_nop 0                                                    // 000000001884: BF800000
	;; [unrolled: 1-line block ×3, first 2 shown]
	s_nop 0                                                    // 00000000188C: BF800000
	s_nop 0                                                    // 000000001890: BF800000
	s_nop 0                                                    // 000000001894: BF800000
	;; [unrolled: 1-line block ×3, first 2 shown]
	s_nop 0                                                    // 00000000189C: BF800000
	s_nop 0                                                    // 0000000018A0: BF800000
	s_nop 0                                                    // 0000000018A4: BF800000
	s_nop 0                                                    // 0000000018A8: BF800000
	s_nop 0                                                    // 0000000018AC: BF800000
	s_nop 0                                                    // 0000000018B0: BF800000
	s_nop 0                                                    // 0000000018B4: BF800000
	s_nop 0                                                    // 0000000018B8: BF800000
	s_nop 0                                                    // 0000000018BC: BF800000
	s_nop 0                                                    // 0000000018C0: BF800000
	s_nop 0                                                    // 0000000018C4: BF800000
	s_nop 0                                                    // 0000000018C8: BF800000
	s_nop 0                                                    // 0000000018CC: BF800000
	s_nop 0                                                    // 0000000018D0: BF800000
	s_nop 0                                                    // 0000000018D4: BF800000
	s_nop 0                                                    // 0000000018D8: BF800000
	s_nop 0                                                    // 0000000018DC: BF800000
	s_nop 0                                                    // 0000000018E0: BF800000
	s_nop 0                                                    // 0000000018E4: BF800000
	s_nop 0                                                    // 0000000018E8: BF800000
	s_nop 0                                                    // 0000000018EC: BF800000
	s_nop 0                                                    // 0000000018F0: BF800000
	s_nop 0                                                    // 0000000018F4: BF800000
	s_nop 0                                                    // 0000000018F8: BF800000
	s_nop 0                                                    // 0000000018FC: BF800000
	s_nop 0                                                    // 000000001900: BF800000
	s_nop 0                                                    // 000000001904: BF800000
	;; [unrolled: 1-line block ×3, first 2 shown]
	s_nop 0                                                    // 00000000190C: BF800000
	s_nop 0                                                    // 000000001910: BF800000
	s_nop 0                                                    // 000000001914: BF800000
	;; [unrolled: 1-line block ×3, first 2 shown]
	s_nop 0                                                    // 00000000191C: BF800000
	s_nop 0                                                    // 000000001920: BF800000
	s_nop 0                                                    // 000000001924: BF800000
	;; [unrolled: 1-line block ×3, first 2 shown]
	s_nop 0                                                    // 00000000192C: BF800000
	s_nop 0                                                    // 000000001930: BF800000
	s_nop 0                                                    // 000000001934: BF800000
	;; [unrolled: 1-line block ×3, first 2 shown]
	s_nop 0                                                    // 00000000193C: BF800000
	s_nop 0                                                    // 000000001940: BF800000
	s_nop 0                                                    // 000000001944: BF800000
	;; [unrolled: 1-line block ×3, first 2 shown]
	s_nop 0                                                    // 00000000194C: BF800000
	s_nop 0                                                    // 000000001950: BF800000
	s_nop 0                                                    // 000000001954: BF800000
	;; [unrolled: 1-line block ×3, first 2 shown]
	s_nop 0                                                    // 00000000195C: BF800000
	s_nop 0                                                    // 000000001960: BF800000
	s_nop 0                                                    // 000000001964: BF800000
	;; [unrolled: 1-line block ×3, first 2 shown]
	s_nop 0                                                    // 00000000196C: BF800000
	s_nop 0                                                    // 000000001970: BF800000
	s_nop 0                                                    // 000000001974: BF800000
	s_nop 0                                                    // 000000001978: BF800000
	s_nop 0                                                    // 00000000197C: BF800000
	s_nop 0                                                    // 000000001980: BF800000
	s_nop 0                                                    // 000000001984: BF800000
	;; [unrolled: 1-line block ×3, first 2 shown]
	s_nop 0                                                    // 00000000198C: BF800000
	s_nop 0                                                    // 000000001990: BF800000
	s_nop 0                                                    // 000000001994: BF800000
	;; [unrolled: 1-line block ×3, first 2 shown]
	s_nop 0                                                    // 00000000199C: BF800000
	s_nop 0                                                    // 0000000019A0: BF800000
	s_nop 0                                                    // 0000000019A4: BF800000
	s_nop 0                                                    // 0000000019A8: BF800000
	s_nop 0                                                    // 0000000019AC: BF800000
	s_nop 0                                                    // 0000000019B0: BF800000
	s_nop 0                                                    // 0000000019B4: BF800000
	s_nop 0                                                    // 0000000019B8: BF800000
	s_nop 0                                                    // 0000000019BC: BF800000
	s_nop 0                                                    // 0000000019C0: BF800000
	s_nop 0                                                    // 0000000019C4: BF800000
	s_nop 0                                                    // 0000000019C8: BF800000
	s_nop 0                                                    // 0000000019CC: BF800000
	s_nop 0                                                    // 0000000019D0: BF800000
	s_nop 0                                                    // 0000000019D4: BF800000
	s_nop 0                                                    // 0000000019D8: BF800000
	s_nop 0                                                    // 0000000019DC: BF800000
	s_nop 0                                                    // 0000000019E0: BF800000
	s_nop 0                                                    // 0000000019E4: BF800000
	s_nop 0                                                    // 0000000019E8: BF800000
	s_nop 0                                                    // 0000000019EC: BF800000
	s_nop 0                                                    // 0000000019F0: BF800000
	s_nop 0                                                    // 0000000019F4: BF800000
	s_nop 0                                                    // 0000000019F8: BF800000
	s_nop 0                                                    // 0000000019FC: BF800000
	s_nop 0                                                    // 000000001A00: BF800000
	s_nop 0                                                    // 000000001A04: BF800000
	s_nop 0                                                    // 000000001A08: BF800000
	s_nop 0                                                    // 000000001A0C: BF800000
	s_nop 0                                                    // 000000001A10: BF800000
	s_nop 0                                                    // 000000001A14: BF800000
	s_nop 0                                                    // 000000001A18: BF800000
	s_nop 0                                                    // 000000001A1C: BF800000
	s_nop 0                                                    // 000000001A20: BF800000
	s_nop 0                                                    // 000000001A24: BF800000
	s_nop 0                                                    // 000000001A28: BF800000
	s_nop 0                                                    // 000000001A2C: BF800000
	s_nop 0                                                    // 000000001A30: BF800000
	s_nop 0                                                    // 000000001A34: BF800000
	s_nop 0                                                    // 000000001A38: BF800000
	s_nop 0                                                    // 000000001A3C: BF800000
	s_nop 0                                                    // 000000001A40: BF800000
	s_nop 0                                                    // 000000001A44: BF800000
	s_nop 0                                                    // 000000001A48: BF800000
	s_nop 0                                                    // 000000001A4C: BF800000
	s_nop 0                                                    // 000000001A50: BF800000
	s_nop 0                                                    // 000000001A54: BF800000
	s_nop 0                                                    // 000000001A58: BF800000
	s_nop 0                                                    // 000000001A5C: BF800000
	s_nop 0                                                    // 000000001A60: BF800000
	s_nop 0                                                    // 000000001A64: BF800000
	s_nop 0                                                    // 000000001A68: BF800000
	s_nop 0                                                    // 000000001A6C: BF800000
	s_nop 0                                                    // 000000001A70: BF800000
	s_nop 0                                                    // 000000001A74: BF800000
	s_nop 0                                                    // 000000001A78: BF800000
	s_nop 0                                                    // 000000001A7C: BF800000
	s_nop 0                                                    // 000000001A80: BF800000
	s_nop 0                                                    // 000000001A84: BF800000
	s_nop 0                                                    // 000000001A88: BF800000
	s_nop 0                                                    // 000000001A8C: BF800000
	s_nop 0                                                    // 000000001A90: BF800000
	s_nop 0                                                    // 000000001A94: BF800000
	s_nop 0                                                    // 000000001A98: BF800000
	s_nop 0                                                    // 000000001A9C: BF800000
	s_nop 0                                                    // 000000001AA0: BF800000
	s_nop 0                                                    // 000000001AA4: BF800000
	s_nop 0                                                    // 000000001AA8: BF800000
	s_nop 0                                                    // 000000001AAC: BF800000
	s_nop 0                                                    // 000000001AB0: BF800000
	s_nop 0                                                    // 000000001AB4: BF800000
	s_nop 0                                                    // 000000001AB8: BF800000
	s_nop 0                                                    // 000000001ABC: BF800000
	s_nop 0                                                    // 000000001AC0: BF800000
	s_nop 0                                                    // 000000001AC4: BF800000
	s_nop 0                                                    // 000000001AC8: BF800000
	s_nop 0                                                    // 000000001ACC: BF800000
	s_nop 0                                                    // 000000001AD0: BF800000
	s_nop 0                                                    // 000000001AD4: BF800000
	s_nop 0                                                    // 000000001AD8: BF800000
	s_nop 0                                                    // 000000001ADC: BF800000
	s_nop 0                                                    // 000000001AE0: BF800000
	s_nop 0                                                    // 000000001AE4: BF800000
	s_nop 0                                                    // 000000001AE8: BF800000
	s_nop 0                                                    // 000000001AEC: BF800000
	s_nop 0                                                    // 000000001AF0: BF800000
	s_nop 0                                                    // 000000001AF4: BF800000
	s_nop 0                                                    // 000000001AF8: BF800000
	s_nop 0                                                    // 000000001AFC: BF800000
	s_nop 0                                                    // 000000001B00: BF800000
	s_nop 0                                                    // 000000001B04: BF800000
	s_nop 0                                                    // 000000001B08: BF800000
	s_nop 0                                                    // 000000001B0C: BF800000
	s_nop 0                                                    // 000000001B10: BF800000
	s_nop 0                                                    // 000000001B14: BF800000
	s_nop 0                                                    // 000000001B18: BF800000
	s_nop 0                                                    // 000000001B1C: BF800000
	s_nop 0                                                    // 000000001B20: BF800000
	s_nop 0                                                    // 000000001B24: BF800000
	s_nop 0                                                    // 000000001B28: BF800000
	s_nop 0                                                    // 000000001B2C: BF800000
	s_nop 0                                                    // 000000001B30: BF800000
	s_nop 0                                                    // 000000001B34: BF800000
	s_nop 0                                                    // 000000001B38: BF800000
	s_nop 0                                                    // 000000001B3C: BF800000
	s_nop 0                                                    // 000000001B40: BF800000
	s_nop 0                                                    // 000000001B44: BF800000
	s_nop 0                                                    // 000000001B48: BF800000
	s_nop 0                                                    // 000000001B4C: BF800000
	s_nop 0                                                    // 000000001B50: BF800000
	s_nop 0                                                    // 000000001B54: BF800000
	s_nop 0                                                    // 000000001B58: BF800000
	s_nop 0                                                    // 000000001B5C: BF800000
	s_nop 0                                                    // 000000001B60: BF800000
	s_nop 0                                                    // 000000001B64: BF800000
	s_nop 0                                                    // 000000001B68: BF800000
	s_nop 0                                                    // 000000001B6C: BF800000
	s_nop 0                                                    // 000000001B70: BF800000
	s_nop 0                                                    // 000000001B74: BF800000
	s_nop 0                                                    // 000000001B78: BF800000
	s_nop 0                                                    // 000000001B7C: BF800000
	s_nop 0                                                    // 000000001B80: BF800000
	s_nop 0                                                    // 000000001B84: BF800000
	s_nop 0                                                    // 000000001B88: BF800000
	s_nop 0                                                    // 000000001B8C: BF800000
	s_nop 0                                                    // 000000001B90: BF800000
	s_nop 0                                                    // 000000001B94: BF800000
	s_nop 0                                                    // 000000001B98: BF800000
	s_nop 0                                                    // 000000001B9C: BF800000
	s_nop 0                                                    // 000000001BA0: BF800000
	s_nop 0                                                    // 000000001BA4: BF800000
	s_nop 0                                                    // 000000001BA8: BF800000
	s_nop 0                                                    // 000000001BAC: BF800000
	s_nop 0                                                    // 000000001BB0: BF800000
	s_nop 0                                                    // 000000001BB4: BF800000
	s_nop 0                                                    // 000000001BB8: BF800000
	s_nop 0                                                    // 000000001BBC: BF800000
	s_nop 0                                                    // 000000001BC0: BF800000
	s_nop 0                                                    // 000000001BC4: BF800000
	s_nop 0                                                    // 000000001BC8: BF800000
	s_nop 0                                                    // 000000001BCC: BF800000
	s_nop 0                                                    // 000000001BD0: BF800000
	s_nop 0                                                    // 000000001BD4: BF800000
	s_nop 0                                                    // 000000001BD8: BF800000
	s_nop 0                                                    // 000000001BDC: BF800000
	s_nop 0                                                    // 000000001BE0: BF800000
	s_nop 0                                                    // 000000001BE4: BF800000
	s_nop 0                                                    // 000000001BE8: BF800000
	s_nop 0                                                    // 000000001BEC: BF800000
	s_nop 0                                                    // 000000001BF0: BF800000
	s_nop 0                                                    // 000000001BF4: BF800000
	s_nop 0                                                    // 000000001BF8: BF800000
	s_nop 0                                                    // 000000001BFC: BF800000

0000000000001c00 <_ZN5aiter10DecodeTopKL19topk_per_row_decodeILi1024ELb0ELi4EEEvPKfPKiPiiii>:
	s_trap 2                                                   // 000000001C00: BF920002
	s_nop 0                                                    // 000000001C04: BF800000
	s_nop 0                                                    // 000000001C08: BF800000
	s_nop 0                                                    // 000000001C0C: BF800000
	s_nop 0                                                    // 000000001C10: BF800000
	s_nop 0                                                    // 000000001C14: BF800000
	s_nop 0                                                    // 000000001C18: BF800000
	s_nop 0                                                    // 000000001C1C: BF800000
	s_nop 0                                                    // 000000001C20: BF800000
	s_nop 0                                                    // 000000001C24: BF800000
	s_nop 0                                                    // 000000001C28: BF800000
	s_nop 0                                                    // 000000001C2C: BF800000
	s_nop 0                                                    // 000000001C30: BF800000
	s_nop 0                                                    // 000000001C34: BF800000
	s_nop 0                                                    // 000000001C38: BF800000
	s_nop 0                                                    // 000000001C3C: BF800000
	s_nop 0                                                    // 000000001C40: BF800000
	s_nop 0                                                    // 000000001C44: BF800000
	s_nop 0                                                    // 000000001C48: BF800000
	s_nop 0                                                    // 000000001C4C: BF800000
	s_nop 0                                                    // 000000001C50: BF800000
	s_nop 0                                                    // 000000001C54: BF800000
	s_nop 0                                                    // 000000001C58: BF800000
	s_nop 0                                                    // 000000001C5C: BF800000
	s_nop 0                                                    // 000000001C60: BF800000
	s_nop 0                                                    // 000000001C64: BF800000
	s_nop 0                                                    // 000000001C68: BF800000
	s_nop 0                                                    // 000000001C6C: BF800000
	s_nop 0                                                    // 000000001C70: BF800000
	s_nop 0                                                    // 000000001C74: BF800000
	s_nop 0                                                    // 000000001C78: BF800000
	s_nop 0                                                    // 000000001C7C: BF800000
	s_nop 0                                                    // 000000001C80: BF800000
	s_nop 0                                                    // 000000001C84: BF800000
	s_nop 0                                                    // 000000001C88: BF800000
	s_nop 0                                                    // 000000001C8C: BF800000
	s_nop 0                                                    // 000000001C90: BF800000
	s_nop 0                                                    // 000000001C94: BF800000
	s_nop 0                                                    // 000000001C98: BF800000
	s_nop 0                                                    // 000000001C9C: BF800000
	s_nop 0                                                    // 000000001CA0: BF800000
	s_nop 0                                                    // 000000001CA4: BF800000
	s_nop 0                                                    // 000000001CA8: BF800000
	s_nop 0                                                    // 000000001CAC: BF800000
	s_nop 0                                                    // 000000001CB0: BF800000
	s_nop 0                                                    // 000000001CB4: BF800000
	s_nop 0                                                    // 000000001CB8: BF800000
	s_nop 0                                                    // 000000001CBC: BF800000
	s_nop 0                                                    // 000000001CC0: BF800000
	s_nop 0                                                    // 000000001CC4: BF800000
	s_nop 0                                                    // 000000001CC8: BF800000
	s_nop 0                                                    // 000000001CCC: BF800000
	s_nop 0                                                    // 000000001CD0: BF800000
	s_nop 0                                                    // 000000001CD4: BF800000
	s_nop 0                                                    // 000000001CD8: BF800000
	s_nop 0                                                    // 000000001CDC: BF800000
	s_nop 0                                                    // 000000001CE0: BF800000
	s_nop 0                                                    // 000000001CE4: BF800000
	s_nop 0                                                    // 000000001CE8: BF800000
	s_nop 0                                                    // 000000001CEC: BF800000
	s_nop 0                                                    // 000000001CF0: BF800000
	s_nop 0                                                    // 000000001CF4: BF800000
	s_nop 0                                                    // 000000001CF8: BF800000
	s_nop 0                                                    // 000000001CFC: BF800000
	s_mov_b32 s18, s13                                         // 000000001D00: BE92000D
	s_mov_b32 s19, 0                                           // 000000001D04: BE930080
	s_ashr_i32 s2, s12, 31                                     // 000000001D08: 90029F0C
	s_mov_b32 s16, s19                                         // 000000001D0C: BE900013
	s_mov_b32 s17, s2                                          // 000000001D10: BE910002
	s_cmp_lg_u64 s[16:17], 0                                   // 000000001D14: BF138010
	s_cbranch_scc0 351                                         // 000000001D18: BF84015F <_ZN5aiter10DecodeTopKL19topk_per_row_decodeILi1024ELb0ELi4EEEvPKfPKiPiiii+0x698>
	s_mov_b32 s16, s2                                          // 000000001D1C: BE900002
	s_mov_b32 s17, s2                                          // 000000001D20: BE910002
	s_add_u32 s20, s12, s2                                     // 000000001D24: 8014020C
	s_addc_u32 s21, s2, s2                                     // 000000001D28: 82150202
	s_xor_b64 s[22:23], s[20:21], s[16:17]                     // 000000001D2C: 88961014
	v_cvt_f32_u32_e32 v1, s22                                  // 000000001D30: 7E020C16
	v_cvt_f32_u32_e32 v2, s23                                  // 000000001D34: 7E040C17
	v_fmamk_f32 v1, v2, 0x4f800000, v1                         // 000000001D38: 2E020302 4F800000
	v_rcp_f32_e32 v1, v1                                       // 000000001D40: 7E024501
	s_nop 0                                                    // 000000001D44: BF800000
	v_mul_f32_e32 v1, 0x5f7ffffc, v1                           // 000000001D48: 0A0202FF 5F7FFFFC
	v_mul_f32_e32 v2, 0x2f800000, v1                           // 000000001D50: 0A0402FF 2F800000
	v_trunc_f32_e32 v2, v2                                     // 000000001D58: 7E043902
	v_fmamk_f32 v1, v2, 0xcf800000, v1                         // 000000001D5C: 2E020302 CF800000
	v_cvt_u32_f32_e32 v2, v2                                   // 000000001D64: 7E040F02
	v_cvt_u32_f32_e32 v1, v1                                   // 000000001D68: 7E020F01
	s_sub_u32 s2, 0, s22                                       // 000000001D6C: 80821680
	s_subb_u32 s3, 0, s23                                      // 000000001D70: 82831780
	v_readfirstlane_b32 s11, v2                                // 000000001D74: 7E160502
	v_readfirstlane_b32 s13, v1                                // 000000001D78: 7E1A0501
	s_mul_i32 s24, s2, s11                                     // 000000001D7C: 92180B02
	s_mul_i32 s25, s3, s13                                     // 000000001D80: 92190D03
	s_mul_hi_u32 s26, s2, s13                                  // 000000001D84: 961A0D02
	s_add_i32 s24, s26, s24                                    // 000000001D88: 8118181A
	s_add_i32 s24, s24, s25                                    // 000000001D8C: 81181918
	s_mul_hi_u32 s25, s13, s24                                 // 000000001D90: 9619180D
	s_mul_i32 s26, s13, s24                                    // 000000001D94: 921A180D
	s_mul_i32 s27, s2, s13                                     // 000000001D98: 921B0D02
	s_mul_hi_u32 s13, s13, s27                                 // 000000001D9C: 960D1B0D
	s_add_u32 s13, s13, s26                                    // 000000001DA0: 800D1A0D
	s_addc_u32 s25, 0, s25                                     // 000000001DA4: 82191980
	s_mul_hi_u32 s26, s11, s24                                 // 000000001DA8: 961A180B
	s_mul_hi_u32 s28, s11, s27                                 // 000000001DAC: 961C1B0B
	s_mul_i32 s27, s11, s27                                    // 000000001DB0: 921B1B0B
	s_add_u32 s13, s13, s27                                    // 000000001DB4: 800D1B0D
	s_addc_u32 s13, s25, s28                                   // 000000001DB8: 820D1C19
	s_addc_u32 s25, s26, 0                                     // 000000001DBC: 8219801A
	s_mul_i32 s24, s11, s24                                    // 000000001DC0: 9218180B
	s_add_u32 s13, s13, s24                                    // 000000001DC4: 800D180D
	s_addc_u32 s24, 0, s25                                     // 000000001DC8: 82181980
	v_add_co_u32_e32 v1, vcc, s13, v1                          // 000000001DCC: 3202020D
	s_cmp_lg_u64 vcc, 0                                        // 000000001DD0: BF13806A
	s_addc_u32 s11, s11, s24                                   // 000000001DD4: 820B180B
	s_mul_i32 s13, s2, s11                                     // 000000001DD8: 920D0B02
	v_readfirstlane_b32 s24, v1                                // 000000001DDC: 7E300501
	s_mul_hi_u32 s25, s2, s24                                  // 000000001DE0: 96191802
	s_add_i32 s13, s25, s13                                    // 000000001DE4: 810D0D19
	s_mul_i32 s3, s3, s24                                      // 000000001DE8: 92031803
	s_add_i32 s13, s13, s3                                     // 000000001DEC: 810D030D
	s_mul_hi_u32 s3, s11, s13                                  // 000000001DF0: 96030D0B
	s_mul_i32 s2, s2, s24                                      // 000000001DF4: 92021802
	s_mul_hi_u32 s25, s11, s2                                  // 000000001DF8: 9619020B
	s_mul_i32 s26, s11, s2                                     // 000000001DFC: 921A020B
	s_mul_hi_u32 s27, s24, s13                                 // 000000001E00: 961B0D18
	s_mul_i32 s28, s24, s13                                    // 000000001E04: 921C0D18
	s_mul_hi_u32 s2, s24, s2                                   // 000000001E08: 96020218
	s_add_u32 s2, s2, s28                                      // 000000001E0C: 80021C02
	s_addc_u32 s24, 0, s27                                     // 000000001E10: 82181B80
	s_add_u32 s2, s2, s26                                      // 000000001E14: 80021A02
	s_addc_u32 s2, s24, s25                                    // 000000001E18: 82021918
	s_addc_u32 s3, s3, 0                                       // 000000001E1C: 82038003
	s_mul_i32 s13, s11, s13                                    // 000000001E20: 920D0D0B
	s_add_u32 s2, s2, s13                                      // 000000001E24: 80020D02
	s_addc_u32 s3, 0, s3                                       // 000000001E28: 82030380
	v_add_co_u32_e32 v1, vcc, s2, v1                           // 000000001E2C: 32020202
	s_cmp_lg_u64 vcc, 0                                        // 000000001E30: BF13806A
	s_addc_u32 s2, s11, s3                                     // 000000001E34: 8202030B
	s_mul_hi_u32 s3, s18, s2                                   // 000000001E38: 96030212
	s_mul_i32 s2, s18, s2                                      // 000000001E3C: 92020212
	v_readfirstlane_b32 s11, v1                                // 000000001E40: 7E160501
	s_mul_hi_u32 s11, s18, s11                                 // 000000001E44: 960B0B12
	s_add_u32 s2, s11, s2                                      // 000000001E48: 8002020B
	s_addc_u32 s3, 0, s3                                       // 000000001E4C: 82030380
	s_add_u32 s2, s2, 0                                        // 000000001E50: 80028002
	s_addc_u32 s2, s3, 0                                       // 000000001E54: 82028003
	s_addc_u32 s3, 0, 0                                        // 000000001E58: 82038080
	s_add_u32 s11, s2, 0                                       // 000000001E5C: 800B8002
	s_addc_u32 s13, 0, s3                                      // 000000001E60: 820D0380
	s_mul_i32 s2, s22, s13                                     // 000000001E64: 92020D16
	s_mul_hi_u32 s3, s22, s11                                  // 000000001E68: 96030B16
	s_add_i32 s2, s3, s2                                       // 000000001E6C: 81020203
	s_mul_i32 s3, s23, s11                                     // 000000001E70: 92030B17
	s_add_i32 s24, s2, s3                                      // 000000001E74: 81180302
	s_sub_i32 s2, 0, s24                                       // 000000001E78: 81821880
	s_mul_i32 s3, s22, s11                                     // 000000001E7C: 92030B16
	v_mov_b32_e32 v1, s3                                       // 000000001E80: 7E020203
	v_sub_co_u32_e32 v1, vcc, s18, v1                          // 000000001E84: 34020212
	s_cmp_lg_u64 vcc, 0                                        // 000000001E88: BF13806A
	s_subb_u32 s25, s2, s23                                    // 000000001E8C: 82991702
	v_subrev_co_u32_e64 v2, s[2:3], s22, v1                    // 000000001E90: D11B0202 00020216
	s_cmp_lg_u64 s[2:3], 0                                     // 000000001E98: BF138002
	s_subb_u32 s2, s25, 0                                      // 000000001E9C: 82828019
	s_cmp_ge_u32 s2, s23                                       // 000000001EA0: BF091702
	s_cselect_b32 s3, -1, 0                                    // 000000001EA4: 850380C1
	v_readfirstlane_b32 s25, v2                                // 000000001EA8: 7E320502
	s_cmp_ge_u32 s25, s22                                      // 000000001EAC: BF091619
	s_cselect_b32 s25, -1, 0                                   // 000000001EB0: 851980C1
	s_cmp_eq_u32 s2, s23                                       // 000000001EB4: BF061702
	s_cselect_b32 s2, s25, s3                                  // 000000001EB8: 85020319
	s_add_u32 s3, s11, 1                                       // 000000001EBC: 8003810B
	s_addc_u32 s25, s13, 0                                     // 000000001EC0: 8219800D
	s_add_u32 s26, s11, 2                                      // 000000001EC4: 801A820B
	s_addc_u32 s27, s13, 0                                     // 000000001EC8: 821B800D
	s_cmp_lg_u32 s2, 0                                         // 000000001ECC: BF078002
	s_cselect_b32 s2, s26, s3                                  // 000000001ED0: 8502031A
	s_cselect_b32 s3, s27, s25                                 // 000000001ED4: 8503191B
	s_cmp_lg_u64 vcc, 0                                        // 000000001ED8: BF13806A
	s_subb_u32 s24, 0, s24                                     // 000000001EDC: 82981880
	s_cmp_ge_u32 s24, s23                                      // 000000001EE0: BF091718
	s_cselect_b32 s25, -1, 0                                   // 000000001EE4: 851980C1
	v_readfirstlane_b32 s26, v1                                // 000000001EE8: 7E340501
	s_cmp_ge_u32 s26, s22                                      // 000000001EEC: BF09161A
	s_cselect_b32 s22, -1, 0                                   // 000000001EF0: 851680C1
	s_cmp_eq_u32 s24, s23                                      // 000000001EF4: BF061718
	s_cselect_b32 s22, s22, s25                                // 000000001EF8: 85161916
	s_cmp_lg_u32 s22, 0                                        // 000000001EFC: BF078016
	s_cselect_b32 s3, s3, s13                                  // 000000001F00: 85030D03
	s_cselect_b32 s2, s2, s11                                  // 000000001F04: 85020B02
	s_xor_b64 s[2:3], s[2:3], s[16:17]                         // 000000001F08: 88821002
	s_sub_u32 s2, s2, s16                                      // 000000001F0C: 80821002
	s_subb_u32 s3, s3, s17                                     // 000000001F10: 82831103
	s_mov_b64 vcc, exec                                        // 000000001F14: BEEA017E
	s_cbranch_execnz 23                                        // 000000001F18: BF890017 <_ZN5aiter10DecodeTopKL19topk_per_row_decodeILi1024ELb0ELi4EEEvPKfPKiPiiii+0x378>
	v_cvt_f32_u32_e32 v1, s12                                  // 000000001F1C: 7E020C0C
	v_rcp_iflag_f32_e32 v1, v1                                 // 000000001F20: 7E024701
	s_nop 0                                                    // 000000001F24: BF800000
	v_mul_f32_e32 v1, 0x4f7ffffe, v1                           // 000000001F28: 0A0202FF 4F7FFFFE
	v_cvt_u32_f32_e32 v1, v1                                   // 000000001F30: 7E020F01
	s_mov_b32 s3, 0                                            // 000000001F34: BE830080
	s_sub_i32 s2, 0, s12                                       // 000000001F38: 81820C80
	v_readfirstlane_b32 s11, v1                                // 000000001F3C: 7E160501
	s_mul_i32 s2, s2, s11                                      // 000000001F40: 92020B02
	s_mul_hi_u32 s2, s11, s2                                   // 000000001F44: 9602020B
	s_add_i32 s11, s11, s2                                     // 000000001F48: 810B020B
	s_mul_hi_u32 s2, s18, s11                                  // 000000001F4C: 96020B12
	s_add_i32 s11, s2, 1                                       // 000000001F50: 810B8102
	s_mul_i32 s13, s2, s12                                     // 000000001F54: 920D0C02
	s_sub_i32 s13, s18, s13                                    // 000000001F58: 818D0D12
	s_sub_i32 s16, s13, s12                                    // 000000001F5C: 81900C0D
	s_cmp_ge_u32 s13, s12                                      // 000000001F60: BF090C0D
	s_cselect_b32 s13, s16, s13                                // 000000001F64: 850D0D10
	s_cselect_b32 s2, s11, s2                                  // 000000001F68: 8502020B
	s_add_i32 s11, s2, 1                                       // 000000001F6C: 810B8102
	s_cmp_ge_u32 s13, s12                                      // 000000001F70: BF090C0D
	s_cselect_b32 s2, s11, s2                                  // 000000001F74: 8502020B
	s_lshl_b64 s[16:17], s[2:3], 2                             // 000000001F78: 8E908202
	s_add_u32 s6, s6, s16                                      // 000000001F7C: 80061006
	s_addc_u32 s7, s7, s17                                     // 000000001F80: 82071107
	s_load_dword s13, s[6:7], 0x0                              // 000000001F84: C0020343 00000000
	s_mul_i32 s2, s2, s12                                      // 000000001F8C: 92020C02
	s_sub_i32 s33, s18, s2                                     // 000000001F90: 81A10212
	s_lshl_b64 s[28:29], s[18:19], 13                          // 000000001F94: 8E9C8D12
	s_waitcnt lgkmcnt(0)                                       // 000000001F98: BF8CC07F
	s_sub_i32 s2, s13, s12                                     // 000000001F9C: 81820C0D
	s_add_i32 s40, s2, s33                                     // 000000001FA0: 81282102
	s_add_i32 s40, s40, 1                                      // 000000001FA4: 81288128
	s_add_u32 s30, s8, s28                                     // 000000001FA8: 801E1C08
	s_addc_u32 s31, s9, s29                                    // 000000001FAC: 821F1D09
	s_cmpk_gt_i32 s40, 0x800                                   // 000000001FB0: B2280800
	s_mov_b64 s[2:3], -1                                       // 000000001FB4: BE8201C1
	v_and_b32_e32 v12, 0x3ff, v0                               // 000000001FB8: 261800FF 000003FF
	s_cbranch_scc0 5948                                        // 000000001FC0: BF84173C <_ZN5aiter10DecodeTopKL19topk_per_row_decodeILi1024ELb0ELi4EEEvPKfPKiPiiii+0x60b4>
	s_mov_b32 s35, 0                                           // 000000001FC4: BEA30080
	v_cmp_ne_u32_e64 s[24:25], 0, v12                          // 000000001FC8: D0CD0018 00021880
	v_cmp_eq_u32_e64 s[16:17], 0, v12                          // 000000001FD0: D0CA0010 00021880
	s_and_saveexec_b64 s[2:3], s[16:17]                        // 000000001FD8: BE822010
	s_cbranch_execz 7                                          // 000000001FDC: BF880007 <_ZN5aiter10DecodeTopKL19topk_per_row_decodeILi1024ELb0ELi4EEEvPKfPKiPiiii+0x3fc>
	v_mov_b32_e32 v1, 0                                        // 000000001FE0: 7E020280
	s_mov_b32 s6, 0x8000                                       // 000000001FE4: BE8600FF 00008000
	v_add_u32_e64 v2, s6, 0                                    // 000000001FEC: D1340002 00010006
	ds_write2_b32 v2, v1, v1 offset0:80 offset1:82             // 000000001FF4: D81C5250 00010102
	s_or_b64 exec, exec, s[2:3]                                // 000000001FFC: 87FE027E
	s_ashr_i32 s2, s10, 31                                     // 000000002000: 90029F0A
	s_mul_hi_u32 s3, s10, s18                                  // 000000002004: 9603120A
	s_mul_i32 s2, s2, s18                                      // 000000002008: 92021202
	s_add_i32 s3, s3, s2                                       // 00000000200C: 81030203
	s_mul_i32 s2, s10, s18                                     // 000000002010: 9202120A
	s_lshl_b64 s[36:37], s[2:3], 2                             // 000000002014: 8EA48202
	s_add_u32 s26, s4, s36                                     // 000000002018: 801A2404
	s_addc_u32 s27, s5, s37                                    // 00000000201C: 821B2505
	v_lshlrev_b32_e32 v13, 2, v12                              // 000000002020: 241A1882
	v_mov_b32_e32 v9, 0                                        // 000000002024: 7E120280
	v_add_u32_e32 v1, 64, v13                                  // 000000002028: 68021AC0
	ds_write2st64_b32 v1, v9, v9 offset0:96 offset1:112        // 00000000202C: D81E7060 00090901
	s_load_dword s2, s[0:1], 0x4                               // 000000002034: C0020080 00000004
	s_waitcnt lgkmcnt(0)                                       // 00000000203C: BF8CC07F
	s_load_dword s3, s[0:1], 0xc                               // 000000002040: C00200C0 0000000C
	s_barrier                                                  // 000000002048: BF8A0000
	s_waitcnt lgkmcnt(0)                                       // 00000000204C: BF8CC07F
	s_and_b32 s2, s2, 0xffff                                   // 000000002050: 8602FF02 0000FFFF
	s_mul_i32 s6, s18, s2                                      // 000000002058: 92060212
	s_sub_i32 s3, s3, s6                                       // 00000000205C: 81830603
	s_min_u32 s38, s3, s2                                      // 000000002060: 83A60203
	s_and_b32 s34, s26, 15                                     // 000000002064: 86228F1A
	s_sub_i32 s2, 16, s34                                      // 000000002068: 81822290
	s_lshr_b32 s6, s2, 2                                       // 00000000206C: 8F068202
	s_mov_b64 s[2:3], 0                                        // 000000002070: BE820180
	s_cmp_lg_u64 s[34:35], 0                                   // 000000002074: BF138022
	s_cselect_b32 s6, s6, 0                                    // 000000002078: 85068006
	s_min_i32 s34, s6, s40                                     // 00000000207C: 83222806
	s_sub_i32 s6, s40, s34                                     // 000000002080: 81862228
	s_ashr_i32 s7, s6, 31                                      // 000000002084: 90079F06
	s_lshr_b32 s7, s7, 30                                      // 000000002088: 8F079E07
	s_add_i32 s6, s6, s7                                       // 00000000208C: 81060706
	s_ashr_i32 s41, s6, 2                                      // 000000002090: 90298206
	v_cmp_gt_i32_e64 s[22:23], s41, v12                        // 000000002094: D0C40016 00021829
	v_mov_b32_e32 v8, -1                                       // 00000000209C: 7E1002C1
	s_and_saveexec_b64 s[6:7], s[22:23]                        // 0000000020A0: BE862016
	s_cbranch_execz 127                                        // 0000000020A4: BF88007F <_ZN5aiter10DecodeTopKL19topk_per_row_decodeILi1024ELb0ELi4EEEvPKfPKiPiiii+0x6a4>
	s_lshl_b64 s[10:11], s[34:35], 2                           // 0000000020A8: 8E8A8222
	s_add_u32 s10, s26, s10                                    // 0000000020AC: 800A0A1A
	s_addc_u32 s11, s27, s11                                   // 0000000020B0: 820B0B1B
	v_mov_b32_e32 v8, -1                                       // 0000000020B4: 7E1002C1
	v_mov_b32_e32 v9, 0                                        // 0000000020B8: 7E120280
	v_mov_b32_e32 v6, v12                                      // 0000000020BC: 7E0C030C
	s_branch 6                                                 // 0000000020C0: BF820006 <_ZN5aiter10DecodeTopKL19topk_per_row_decodeILi1024ELb0ELi4EEEvPKfPKiPiiii+0x4dc>
	s_or_b64 exec, exec, s[18:19]                              // 0000000020C4: 87FE127E
	v_add_u32_e32 v6, s38, v6                                  // 0000000020C8: 680C0C26
	v_cmp_le_i32_e32 vcc, s41, v6                              // 0000000020CC: 7D860C29
	s_or_b64 s[2:3], vcc, s[2:3]                               // 0000000020D0: 8782026A
	s_andn2_b64 exec, exec, s[2:3]                             // 0000000020D4: 89FE027E
	s_cbranch_execz 113                                        // 0000000020D8: BF880071 <_ZN5aiter10DecodeTopKL19topk_per_row_decodeILi1024ELb0ELi4EEEvPKfPKiPiiii+0x6a0>
	v_ashrrev_i32_e32 v7, 31, v6                               // 0000000020DC: 220E0C9F
	v_lshl_add_u64 v[2:3], v[6:7], 4, s[10:11]                 // 0000000020E0: D2080002 00290906
	global_load_dwordx4 v[2:5], v[2:3], off                    // 0000000020E8: DC5C8000 027F0002
	s_waitcnt vmcnt(0)                                         // 0000000020F0: BF8C0F70
	v_cvt_f16_f32_e32 v1, v2                                   // 0000000020F4: 7E021502
	v_xor_b32_e32 v2, -1, v1                                   // 0000000020F8: 2A0402C1
	v_and_b32_e32 v2, 0x7fe0, v2                               // 0000000020FC: 260404FF 00007FE0
	v_cmp_gt_i16_e32 vcc, 0, v1                                // 000000002104: 7D480280
	s_nop 1                                                    // 000000002108: BF800001
	v_cndmask_b32_e32 v1, v2, v1, vcc                          // 00000000210C: 00020302
	v_lshrrev_b16_e32 v1, 5, v1                                // 000000002110: 56020285
	v_cmp_ne_u32_e32 vcc, v8, v1                               // 000000002114: 7D9A0308
	s_and_saveexec_b64 s[18:19], vcc                           // 000000002118: BE92206A
	s_xor_b64 s[18:19], exec, s[18:19]                         // 00000000211C: 8892127E
	s_cbranch_execz 8                                          // 000000002120: BF880008 <_ZN5aiter10DecodeTopKL19topk_per_row_decodeILi1024ELb0ELi4EEEvPKfPKiPiiii+0x544>
	v_cmp_lt_i32_e32 vcc, 0, v9                                // 000000002124: 7D821280
	s_and_saveexec_b64 s[20:21], vcc                           // 000000002128: BE94206A
	s_cbranch_execz 3                                          // 00000000212C: BF880003 <_ZN5aiter10DecodeTopKL19topk_per_row_decodeILi1024ELb0ELi4EEEvPKfPKiPiiii+0x53c>
	v_lshlrev_b32_e32 v2, 2, v8                                // 000000002130: 24041082
	ds_add_u32 v2, v9 offset:24640                             // 000000002134: D8006040 00000902
	s_or_b64 exec, exec, s[20:21]                              // 00000000213C: 87FE147E
	s_mov_b32 s20, 1                                           // 000000002140: BE940081
	s_or_saveexec_b64 s[18:19], s[18:19]                       // 000000002144: BE922112
	v_mov_b32_e32 v7, s20                                      // 000000002148: 7E0E0214
	s_xor_b64 exec, exec, s[18:19]                             // 00000000214C: 88FE127E
	v_add_u32_e32 v7, 1, v9                                    // 000000002150: 680E1281
	v_mov_b32_e32 v1, v8                                       // 000000002154: 7E020308
	s_or_b64 exec, exec, s[18:19]                              // 000000002158: 87FE127E
	v_cvt_f16_f32_e32 v2, v3                                   // 00000000215C: 7E041503
	v_xor_b32_e32 v3, -1, v2                                   // 000000002160: 2A0604C1
	v_and_b32_e32 v3, 0x7fe0, v3                               // 000000002164: 260606FF 00007FE0
	v_cmp_gt_i16_e32 vcc, 0, v2                                // 00000000216C: 7D480480
	s_nop 1                                                    // 000000002170: BF800001
	v_cndmask_b32_e32 v2, v3, v2, vcc                          // 000000002174: 00040503
	v_lshrrev_b16_e32 v2, 5, v2                                // 000000002178: 56040485
	v_cmp_ne_u32_e32 vcc, v1, v2                               // 00000000217C: 7D9A0501
	s_and_saveexec_b64 s[18:19], vcc                           // 000000002180: BE92206A
	s_xor_b64 s[18:19], exec, s[18:19]                         // 000000002184: 8892127E
	s_cbranch_execz 8                                          // 000000002188: BF880008 <_ZN5aiter10DecodeTopKL19topk_per_row_decodeILi1024ELb0ELi4EEEvPKfPKiPiiii+0x5ac>
	v_cmp_lt_i32_e32 vcc, 0, v7                                // 00000000218C: 7D820E80
	s_and_saveexec_b64 s[20:21], vcc                           // 000000002190: BE94206A
	s_cbranch_execz 3                                          // 000000002194: BF880003 <_ZN5aiter10DecodeTopKL19topk_per_row_decodeILi1024ELb0ELi4EEEvPKfPKiPiiii+0x5a4>
	v_lshlrev_b32_e32 v1, 2, v1                                // 000000002198: 24020282
	ds_add_u32 v1, v7 offset:24640                             // 00000000219C: D8006040 00000701
	s_or_b64 exec, exec, s[20:21]                              // 0000000021A4: 87FE147E
	s_mov_b32 s20, 1                                           // 0000000021A8: BE940081
	s_or_saveexec_b64 s[18:19], s[18:19]                       // 0000000021AC: BE922112
	v_mov_b32_e32 v8, s20                                      // 0000000021B0: 7E100214
	s_xor_b64 exec, exec, s[18:19]                             // 0000000021B4: 88FE127E
	v_add_u32_e32 v8, 1, v7                                    // 0000000021B8: 68100E81
	v_mov_b32_e32 v2, v1                                       // 0000000021BC: 7E040301
	s_or_b64 exec, exec, s[18:19]                              // 0000000021C0: 87FE127E
	v_cvt_f16_f32_e32 v1, v4                                   // 0000000021C4: 7E021504
	v_xor_b32_e32 v3, -1, v1                                   // 0000000021C8: 2A0602C1
	v_and_b32_e32 v3, 0x7fe0, v3                               // 0000000021CC: 260606FF 00007FE0
	v_cmp_gt_i16_e32 vcc, 0, v1                                // 0000000021D4: 7D480280
	s_nop 1                                                    // 0000000021D8: BF800001
	v_cndmask_b32_e32 v1, v3, v1, vcc                          // 0000000021DC: 00020303
	v_lshrrev_b16_e32 v1, 5, v1                                // 0000000021E0: 56020285
	v_cmp_ne_u32_e32 vcc, v2, v1                               // 0000000021E4: 7D9A0302
	s_and_saveexec_b64 s[18:19], vcc                           // 0000000021E8: BE92206A
	s_xor_b64 s[18:19], exec, s[18:19]                         // 0000000021EC: 8892127E
	s_cbranch_execz 8                                          // 0000000021F0: BF880008 <_ZN5aiter10DecodeTopKL19topk_per_row_decodeILi1024ELb0ELi4EEEvPKfPKiPiiii+0x614>
	v_cmp_lt_i32_e32 vcc, 0, v8                                // 0000000021F4: 7D821080
	s_and_saveexec_b64 s[20:21], vcc                           // 0000000021F8: BE94206A
	s_cbranch_execz 3                                          // 0000000021FC: BF880003 <_ZN5aiter10DecodeTopKL19topk_per_row_decodeILi1024ELb0ELi4EEEvPKfPKiPiiii+0x60c>
	v_lshlrev_b32_e32 v2, 2, v2                                // 000000002200: 24040482
	ds_add_u32 v2, v8 offset:24640                             // 000000002204: D8006040 00000802
	s_or_b64 exec, exec, s[20:21]                              // 00000000220C: 87FE147E
	s_mov_b32 s20, 1                                           // 000000002210: BE940081
	s_or_saveexec_b64 s[18:19], s[18:19]                       // 000000002214: BE922112
	v_mov_b32_e32 v3, s20                                      // 000000002218: 7E060214
	s_xor_b64 exec, exec, s[18:19]                             // 00000000221C: 88FE127E
	v_add_u32_e32 v3, 1, v8                                    // 000000002220: 68061081
	v_mov_b32_e32 v1, v2                                       // 000000002224: 7E020302
	s_or_b64 exec, exec, s[18:19]                              // 000000002228: 87FE127E
	v_cvt_f16_f32_e32 v2, v5                                   // 00000000222C: 7E041505
	v_xor_b32_e32 v4, -1, v2                                   // 000000002230: 2A0804C1
	v_and_b32_e32 v4, 0x7fe0, v4                               // 000000002234: 260808FF 00007FE0
	v_cmp_gt_i16_e32 vcc, 0, v2                                // 00000000223C: 7D480480
	s_nop 1                                                    // 000000002240: BF800001
	v_cndmask_b32_e32 v2, v4, v2, vcc                          // 000000002244: 00040504
	v_lshrrev_b16_e32 v8, 5, v2                                // 000000002248: 56100485
	v_cmp_ne_u32_e32 vcc, v1, v8                               // 00000000224C: 7D9A1101
	s_and_saveexec_b64 s[18:19], vcc                           // 000000002250: BE92206A
	s_xor_b64 s[18:19], exec, s[18:19]                         // 000000002254: 8892127E
	s_cbranch_execz 8                                          // 000000002258: BF880008 <_ZN5aiter10DecodeTopKL19topk_per_row_decodeILi1024ELb0ELi4EEEvPKfPKiPiiii+0x67c>
	v_cmp_lt_i32_e32 vcc, 0, v3                                // 00000000225C: 7D820680
	s_and_saveexec_b64 s[20:21], vcc                           // 000000002260: BE94206A
	s_cbranch_execz 3                                          // 000000002264: BF880003 <_ZN5aiter10DecodeTopKL19topk_per_row_decodeILi1024ELb0ELi4EEEvPKfPKiPiiii+0x674>
	v_lshlrev_b32_e32 v1, 2, v1                                // 000000002268: 24020282
	ds_add_u32 v1, v3 offset:24640                             // 00000000226C: D8006040 00000301
	s_or_b64 exec, exec, s[20:21]                              // 000000002274: 87FE147E
	s_mov_b32 s20, 1                                           // 000000002278: BE940081
	s_or_saveexec_b64 s[18:19], s[18:19]                       // 00000000227C: BE922112
	v_mov_b32_e32 v9, s20                                      // 000000002280: 7E120214
	s_xor_b64 exec, exec, s[18:19]                             // 000000002284: 88FE127E
	s_cbranch_execz 65422                                      // 000000002288: BF88FF8E <_ZN5aiter10DecodeTopKL19topk_per_row_decodeILi1024ELb0ELi4EEEvPKfPKiPiiii+0x4c4>
	v_add_u32_e32 v9, 1, v3                                    // 00000000228C: 68120681
	v_mov_b32_e32 v8, v1                                       // 000000002290: 7E100301
	s_branch 65419                                             // 000000002294: BF82FF8B <_ZN5aiter10DecodeTopKL19topk_per_row_decodeILi1024ELb0ELi4EEEvPKfPKiPiiii+0x4c4>
	s_mov_b64 vcc, 0                                           // 000000002298: BEEA0180
	s_branch 65311                                             // 00000000229C: BF82FF1F <_ZN5aiter10DecodeTopKL19topk_per_row_decodeILi1024ELb0ELi4EEEvPKfPKiPiiii+0x31c>
	s_or_b64 exec, exec, s[2:3]                                // 0000000022A0: 87FE027E
	s_or_b64 exec, exec, s[6:7]                                // 0000000022A4: 87FE067E
	v_add_u32_e32 v1, 0x6040, v13                              // 0000000022A8: 68021AFF 00006040
	v_cmp_gt_u32_e64 s[6:7], s34, v12                          // 0000000022B0: D0CC0006 00021822
	s_and_saveexec_b64 s[2:3], s[6:7]                          // 0000000022B8: BE822006
	s_cbranch_execz 31                                         // 0000000022BC: BF88001F <_ZN5aiter10DecodeTopKL19topk_per_row_decodeILi1024ELb0ELi4EEEvPKfPKiPiiii+0x73c>
	global_load_dword v5, v13, s[26:27]                        // 0000000022C0: DC508000 051A000D
	s_waitcnt vmcnt(0)                                         // 0000000022C8: BF8C0F70
	v_cvt_f16_f32_e32 v2, v5                                   // 0000000022CC: 7E041505
	v_xor_b32_e32 v3, -1, v2                                   // 0000000022D0: 2A0604C1
	v_and_b32_e32 v3, 0x7fe0, v3                               // 0000000022D4: 260606FF 00007FE0
	v_cmp_gt_i16_e32 vcc, 0, v2                                // 0000000022DC: 7D480480
	s_nop 1                                                    // 0000000022E0: BF800001
	v_cndmask_b32_e32 v2, v3, v2, vcc                          // 0000000022E4: 00040503
	v_lshrrev_b16_e32 v2, 5, v2                                // 0000000022E8: 56040485
	v_cmp_ne_u32_e32 vcc, v8, v2                               // 0000000022EC: 7D9A0508
	s_and_saveexec_b64 s[10:11], vcc                           // 0000000022F0: BE8A206A
	s_xor_b64 s[10:11], exec, s[10:11]                         // 0000000022F4: 888A0A7E
	s_cbranch_execz 8                                          // 0000000022F8: BF880008 <_ZN5aiter10DecodeTopKL19topk_per_row_decodeILi1024ELb0ELi4EEEvPKfPKiPiiii+0x71c>
	v_cmp_lt_i32_e32 vcc, 0, v9                                // 0000000022FC: 7D821280
	s_and_saveexec_b64 s[18:19], vcc                           // 000000002300: BE92206A
	s_cbranch_execz 3                                          // 000000002304: BF880003 <_ZN5aiter10DecodeTopKL19topk_per_row_decodeILi1024ELb0ELi4EEEvPKfPKiPiiii+0x714>
	v_lshlrev_b32_e32 v3, 2, v8                                // 000000002308: 24061082
	ds_add_u32 v3, v9 offset:24640                             // 00000000230C: D8006040 00000903
	s_or_b64 exec, exec, s[18:19]                              // 000000002314: 87FE127E
	s_mov_b32 s18, 1                                           // 000000002318: BE920081
	s_or_saveexec_b64 s[10:11], s[10:11]                       // 00000000231C: BE8A210A
	v_mov_b32_e32 v3, s18                                      // 000000002320: 7E060212
	s_xor_b64 exec, exec, s[10:11]                             // 000000002324: 88FE0A7E
	v_add_u32_e32 v3, 1, v9                                    // 000000002328: 68061281
	v_mov_b32_e32 v2, v8                                       // 00000000232C: 7E040308
	s_or_b64 exec, exec, s[10:11]                              // 000000002330: 87FE0A7E
	v_mov_b32_e32 v9, v3                                       // 000000002334: 7E120303
	v_mov_b32_e32 v8, v2                                       // 000000002338: 7E100302
	s_or_b64 exec, exec, s[2:3]                                // 00000000233C: 87FE027E
	s_lshl_b32 s2, s41, 2                                      // 000000002340: 8E028229
	s_add_i32 s2, s2, s34                                      // 000000002344: 81022202
	v_add_u32_e32 v16, s2, v12                                 // 000000002348: 68201802
	v_cmp_gt_i32_e64 s[10:11], s40, v16                        // 00000000234C: D0C4000A 00022028
	v_ashrrev_i32_e32 v17, 31, v16                             // 000000002354: 2222209F
	s_and_saveexec_b64 s[2:3], s[10:11]                        // 000000002358: BE82200A
	s_cbranch_execz 33                                         // 00000000235C: BF880021 <_ZN5aiter10DecodeTopKL19topk_per_row_decodeILi1024ELb0ELi4EEEvPKfPKiPiiii+0x7e4>
	v_lshl_add_u64 v[2:3], v[16:17], 2, s[26:27]               // 000000002360: D2080002 00690510
	global_load_dword v5, v[2:3], off                          // 000000002368: DC508000 057F0002
	s_waitcnt vmcnt(0)                                         // 000000002370: BF8C0F70
	v_cvt_f16_f32_e32 v2, v5                                   // 000000002374: 7E041505
	v_xor_b32_e32 v3, -1, v2                                   // 000000002378: 2A0604C1
	v_and_b32_e32 v3, 0x7fe0, v3                               // 00000000237C: 260606FF 00007FE0
	v_cmp_gt_i16_e32 vcc, 0, v2                                // 000000002384: 7D480480
	s_nop 1                                                    // 000000002388: BF800001
	v_cndmask_b32_e32 v2, v3, v2, vcc                          // 00000000238C: 00040503
	v_lshrrev_b16_e32 v2, 5, v2                                // 000000002390: 56040485
	v_cmp_ne_u32_e32 vcc, v8, v2                               // 000000002394: 7D9A0508
	s_and_saveexec_b64 s[18:19], vcc                           // 000000002398: BE92206A
	s_xor_b64 s[18:19], exec, s[18:19]                         // 00000000239C: 8892127E
	s_cbranch_execz 8                                          // 0000000023A0: BF880008 <_ZN5aiter10DecodeTopKL19topk_per_row_decodeILi1024ELb0ELi4EEEvPKfPKiPiiii+0x7c4>
	v_cmp_lt_i32_e32 vcc, 0, v9                                // 0000000023A4: 7D821280
	s_and_saveexec_b64 s[20:21], vcc                           // 0000000023A8: BE94206A
	s_cbranch_execz 3                                          // 0000000023AC: BF880003 <_ZN5aiter10DecodeTopKL19topk_per_row_decodeILi1024ELb0ELi4EEEvPKfPKiPiiii+0x7bc>
	v_lshlrev_b32_e32 v3, 2, v8                                // 0000000023B0: 24061082
	ds_add_u32 v3, v9 offset:24640                             // 0000000023B4: D8006040 00000903
	s_or_b64 exec, exec, s[20:21]                              // 0000000023BC: 87FE147E
	s_mov_b32 s20, 1                                           // 0000000023C0: BE940081
	s_or_saveexec_b64 s[18:19], s[18:19]                       // 0000000023C4: BE922112
	v_mov_b32_e32 v3, s20                                      // 0000000023C8: 7E060214
	s_xor_b64 exec, exec, s[18:19]                             // 0000000023CC: 88FE127E
	v_add_u32_e32 v3, 1, v9                                    // 0000000023D0: 68061281
	v_mov_b32_e32 v2, v8                                       // 0000000023D4: 7E040308
	s_or_b64 exec, exec, s[18:19]                              // 0000000023D8: 87FE127E
	v_mov_b32_e32 v9, v3                                       // 0000000023DC: 7E120303
	v_mov_b32_e32 v8, v2                                       // 0000000023E0: 7E100302
	s_or_b64 exec, exec, s[2:3]                                // 0000000023E4: 87FE027E
	v_cmp_lt_i32_e32 vcc, 0, v9                                // 0000000023E8: 7D821280
	s_and_saveexec_b64 s[2:3], vcc                             // 0000000023EC: BE82206A
	s_cbranch_execz 15                                         // 0000000023F0: BF88000F <_ZN5aiter10DecodeTopKL19topk_per_row_decodeILi1024ELb0ELi4EEEvPKfPKiPiiii+0x830>
	v_cvt_f16_f32_e64 v2, -v5                                  // 0000000023F4: D14A0002 20000105
	v_xor_b32_e32 v3, -1, v2                                   // 0000000023FC: 2A0604C1
	v_and_b32_e32 v3, 0x7fe0, v3                               // 000000002400: 260606FF 00007FE0
	v_cmp_gt_i16_e32 vcc, 0, v2                                // 000000002408: 7D480480
	s_nop 1                                                    // 00000000240C: BF800001
	v_cndmask_b32_e32 v2, v3, v2, vcc                          // 000000002410: 00040503
	v_lshrrev_b16_e32 v2, 5, v2                                // 000000002414: 56040485
	v_cmp_ne_u32_e32 vcc, v8, v2                               // 000000002418: 7D9A0508
	s_and_b64 exec, exec, vcc                                  // 00000000241C: 86FE6A7E
	s_cbranch_execz 3                                          // 000000002420: BF880003 <_ZN5aiter10DecodeTopKL19topk_per_row_decodeILi1024ELb0ELi4EEEvPKfPKiPiiii+0x830>
	v_lshlrev_b32_e32 v2, 2, v8                                // 000000002424: 24041082
	ds_add_u32 v2, v9 offset:24640                             // 000000002428: D8006040 00000902
	s_or_b64 exec, exec, s[2:3]                                // 000000002430: 87FE027E
	v_mov_b32_e32 v5, 0                                        // 000000002434: 7E0A0280
	global_load_dword v7, v5, s[0:1] offset:6                  // 000000002438: DC508006 07000005
	s_waitcnt lgkmcnt(0)                                       // 000000002440: BF8CC07F
	s_barrier                                                  // 000000002444: BF8A0000
	ds_read_b32 v6, v5 offset:33096                            // 000000002448: D86C8148 06000005
	v_lshrrev_b32_e32 v2, 5, v12                               // 000000002450: 20041885
	v_cmp_lt_u32_e64 s[2:3], 63, v12                           // 000000002454: D0C90002 000218BF
	v_cmp_gt_u32_e64 s[18:19], 64, v12                         // 00000000245C: D0CC0012 000218C0
	v_lshlrev_b32_e32 v14, 4, v12                              // 000000002464: 241C1884
	v_lshrrev_b32_e32 v8, 1, v12                               // 000000002468: 20101881
	s_load_dwordx2 s[0:1], s[0:1], 0x10                        // 00000000246C: C0060000 00000010
	ds_read_b32 v4, v1                                         // 000000002474: D86C0000 04000001
	v_add_lshl_u32 v3, v2, v12, 2                              // 00000000247C: D1FE0003 020A1902
	v_add_lshl_u32 v2, v8, v14, 2                              // 000000002484: D1FE0002 020A1D08
	s_waitcnt lgkmcnt(0)                                       // 00000000248C: BF8CC07F
	s_barrier                                                  // 000000002490: BF8A0000
	ds_write_b32 v3, v4                                        // 000000002494: D81A0000 00000403
	s_waitcnt lgkmcnt(0)                                       // 00000000249C: BF8CC07F
	s_barrier                                                  // 0000000024A0: BF8A0000
	s_waitcnt vmcnt(0)                                         // 0000000024A4: BF8C0F70
	v_readfirstlane_b32 s20, v7                                // 0000000024A8: 7E280507
	s_lshr_b32 s39, s20, 16                                    // 0000000024AC: 8F279014
	s_and_b32 s42, s20, 0xffff                                 // 0000000024B0: 862AFF14 0000FFFF
	s_mul_i32 s14, s14, s42                                    // 0000000024B8: 920E2A0E
	s_and_saveexec_b64 s[20:21], s[18:19]                      // 0000000024BC: BE942012
	s_cbranch_execz 128                                        // 0000000024C0: BF880080 <_ZN5aiter10DecodeTopKL19topk_per_row_decodeILi1024ELb0ELi4EEEvPKfPKiPiiii+0xac4>
	ds_read2_b32 v[8:9], v2 offset1:1                          // 0000000024C4: D86E0100 08000002
	ds_read2_b32 v[10:11], v2 offset0:2 offset1:3              // 0000000024CC: D86E0302 0A000002
	ds_read2_b32 v[18:19], v2 offset0:4 offset1:5              // 0000000024D4: D86E0504 12000002
	ds_read2_b32 v[20:21], v2 offset0:6 offset1:7              // 0000000024DC: D86E0706 14000002
	s_waitcnt lgkmcnt(3)                                       // 0000000024E4: BF8CC37F
	v_add_u32_e32 v7, v9, v8                                   // 0000000024E8: 680E1109
	s_waitcnt lgkmcnt(2)                                       // 0000000024EC: BF8CC27F
	v_add3_u32 v7, v7, v10, v11                                // 0000000024F0: D1FF0007 042E1507
	s_waitcnt lgkmcnt(1)                                       // 0000000024F8: BF8CC17F
	v_add3_u32 v7, v7, v18, v19                                // 0000000024FC: D1FF0007 044E2507
	ds_read2_b32 v[22:23], v2 offset0:8 offset1:9              // 000000002504: D86E0908 16000002
	ds_read2_b32 v[24:25], v2 offset0:10 offset1:11            // 00000000250C: D86E0B0A 18000002
	ds_read2_b32 v[26:27], v2 offset0:12 offset1:13            // 000000002514: D86E0D0C 1A000002
	ds_read2_b32 v[28:29], v2 offset0:14 offset1:15            // 00000000251C: D86E0F0E 1C000002
	s_waitcnt lgkmcnt(4)                                       // 000000002524: BF8CC47F
	v_add3_u32 v7, v7, v20, v21                                // 000000002528: D1FF0007 04562907
	s_waitcnt lgkmcnt(3)                                       // 000000002530: BF8CC37F
	v_add3_u32 v7, v7, v22, v23                                // 000000002534: D1FF0007 045E2D07
	s_waitcnt lgkmcnt(2)                                       // 00000000253C: BF8CC27F
	v_add3_u32 v7, v7, v24, v25                                // 000000002540: D1FF0007 04663107
	s_waitcnt lgkmcnt(1)                                       // 000000002548: BF8CC17F
	v_add3_u32 v7, v7, v26, v27                                // 00000000254C: D1FF0007 046E3507
	s_waitcnt lgkmcnt(0)                                       // 000000002554: BF8CC07F
	v_add3_u32 v7, v7, v28, v29                                // 000000002558: D1FF0007 04763907
	v_mbcnt_lo_u32_b32 v15, -1, 0                              // 000000002560: D28C000F 000100C1
	v_mbcnt_hi_u32_b32 v15, -1, v15                            // 000000002568: D28D000F 00021EC1
	v_and_b32_e32 v30, 15, v15                                 // 000000002570: 263C1E8F
	v_mov_b32_dpp v31, v7 row_shr:1 row_mask:0xf bank_mask:0xf // 000000002574: 7E3E02FA FF011107
	v_cmp_ne_u32_e32 vcc, 0, v30                               // 00000000257C: 7D9A3C80
	s_nop 1                                                    // 000000002580: BF800001
	v_cndmask_b32_e32 v31, 0, v31, vcc                         // 000000002584: 003E3E80
	v_add_u32_e32 v7, v31, v7                                  // 000000002588: 680E0F1F
	s_nop 1                                                    // 00000000258C: BF800001
	v_mov_b32_dpp v31, v7 row_shr:2 row_mask:0xf bank_mask:0xf // 000000002590: 7E3E02FA FF011207
	v_cmp_lt_u32_e32 vcc, 1, v30                               // 000000002598: 7D923C81
	s_nop 1                                                    // 00000000259C: BF800001
	v_cndmask_b32_e32 v31, 0, v31, vcc                         // 0000000025A0: 003E3E80
	v_add_u32_e32 v7, v7, v31                                  // 0000000025A4: 680E3F07
	s_nop 1                                                    // 0000000025A8: BF800001
	v_mov_b32_dpp v31, v7 row_shr:4 row_mask:0xf bank_mask:0xf // 0000000025AC: 7E3E02FA FF011407
	v_cmp_lt_u32_e32 vcc, 3, v30                               // 0000000025B4: 7D923C83
	s_nop 1                                                    // 0000000025B8: BF800001
	v_cndmask_b32_e32 v31, 0, v31, vcc                         // 0000000025BC: 003E3E80
	v_add_u32_e32 v7, v7, v31                                  // 0000000025C0: 680E3F07
	s_nop 1                                                    // 0000000025C4: BF800001
	v_mov_b32_dpp v31, v7 row_shr:8 row_mask:0xf bank_mask:0xf // 0000000025C8: 7E3E02FA FF011807
	v_cmp_lt_u32_e32 vcc, 7, v30                               // 0000000025D0: 7D923C87
	s_nop 1                                                    // 0000000025D4: BF800001
	v_cndmask_b32_e32 v30, 0, v31, vcc                         // 0000000025D8: 003C3E80
	v_add_u32_e32 v7, v7, v30                                  // 0000000025DC: 680E3D07
	s_nop 1                                                    // 0000000025E0: BF800001
	v_mov_b32_dpp v30, v7 row_bcast:15 row_mask:0xf bank_mask:0xf// 0000000025E4: 7E3C02FA FF014207
	v_bfe_i32 v31, v15, 4, 1                                   // 0000000025EC: D1C9001F 0205090F
	v_and_b32_e32 v30, v31, v30                                // 0000000025F4: 263C3D1F
	v_add_u32_e32 v7, v7, v30                                  // 0000000025F8: 680E3D07
	s_nop 1                                                    // 0000000025FC: BF800001
	v_mov_b32_dpp v30, v7 row_bcast:31 row_mask:0xf bank_mask:0xf// 000000002600: 7E3C02FA FF014307
	v_cmp_lt_u32_e32 vcc, 31, v15                              // 000000002608: 7D921E9F
	s_nop 1                                                    // 00000000260C: BF800001
	v_cndmask_b32_e32 v30, 0, v30, vcc                         // 000000002610: 003C3C80
	v_add_u32_e32 v7, v7, v30                                  // 000000002614: 680E3D07
	v_add_u32_e32 v30, -1, v15                                 // 000000002618: 683C1EC1
	v_and_b32_e32 v31, 64, v15                                 // 00000000261C: 263E1EC0
	v_cmp_lt_i32_e32 vcc, v30, v31                             // 000000002620: 7D823F1E
	s_nop 1                                                    // 000000002624: BF800001
	v_cndmask_b32_e32 v15, v30, v15, vcc                       // 000000002628: 001E1F1E
	v_lshlrev_b32_e32 v15, 2, v15                              // 00000000262C: 241E1E82
	ds_bpermute_b32 v7, v15, v7                                // 000000002630: D87E0000 0700070F
	s_waitcnt lgkmcnt(0)                                       // 000000002638: BF8CC07F
	v_add_u32_e32 v7, v7, v8                                   // 00000000263C: 680E1107
	v_cndmask_b32_e64 v4, v7, v4, s[16:17]                     // 000000002640: D1000004 00420907
	v_add_u32_e32 v7, v4, v9                                   // 000000002648: 680E1304
	ds_write2_b32 v2, v4, v7 offset1:1                         // 00000000264C: D81C0100 00070402
	v_add_u32_e32 v4, v7, v10                                  // 000000002654: 68081507
	v_add_u32_e32 v7, v4, v11                                  // 000000002658: 680E1704
	ds_write2_b32 v2, v4, v7 offset0:2 offset1:3               // 00000000265C: D81C0302 00070402
	v_add_u32_e32 v4, v7, v18                                  // 000000002664: 68082507
	v_add_u32_e32 v7, v4, v19                                  // 000000002668: 680E2704
	ds_write2_b32 v2, v4, v7 offset0:4 offset1:5               // 00000000266C: D81C0504 00070402
	v_add_u32_e32 v4, v7, v20                                  // 000000002674: 68082907
	v_add_u32_e32 v7, v4, v21                                  // 000000002678: 680E2B04
	ds_write2_b32 v2, v4, v7 offset0:6 offset1:7               // 00000000267C: D81C0706 00070402
	v_add_u32_e32 v4, v7, v22                                  // 000000002684: 68082D07
	v_add_u32_e32 v7, v4, v23                                  // 000000002688: 680E2F04
	ds_write2_b32 v2, v4, v7 offset0:8 offset1:9               // 00000000268C: D81C0908 00070402
	v_add_u32_e32 v4, v7, v24                                  // 000000002694: 68083107
	v_add_u32_e32 v7, v4, v25                                  // 000000002698: 680E3304
	ds_write2_b32 v2, v4, v7 offset0:10 offset1:11             // 00000000269C: D81C0B0A 00070402
	v_add_u32_e32 v4, v7, v26                                  // 0000000026A4: 68083507
	v_add_u32_e32 v7, v4, v27                                  // 0000000026A8: 680E3704
	ds_write2_b32 v2, v4, v7 offset0:12 offset1:13             // 0000000026AC: D81C0D0C 00070402
	v_add_u32_e32 v4, v7, v28                                  // 0000000026B4: 68083907
	v_add_u32_e32 v7, v4, v29                                  // 0000000026B8: 680E3B04
	ds_write2_b32 v2, v4, v7 offset0:14 offset1:15             // 0000000026BC: D81C0F0E 00070402
	s_or_b64 exec, exec, s[20:21]                              // 0000000026C4: 87FE147E
	s_mul_i32 s20, s15, s39                                    // 0000000026C8: 9214270F
	s_sub_i32 s0, s0, s14                                      // 0000000026CC: 81800E00
	v_add_u32_e32 v4, -1, v12                                  // 0000000026D0: 680818C1
	v_lshrrev_b32_e32 v7, 5, v4                                // 0000000026D4: 200E0885
	v_add_lshl_u32 v4, v7, v4, 2                               // 0000000026D8: D1FE0004 020A0907
	s_waitcnt lgkmcnt(0)                                       // 0000000026E0: BF8CC07F
	s_barrier                                                  // 0000000026E4: BF8A0000
	s_and_saveexec_b64 s[14:15], s[24:25]                      // 0000000026E8: BE8E2018
	s_cbranch_execz 2                                          // 0000000026EC: BF880002 <_ZN5aiter10DecodeTopKL19topk_per_row_decodeILi1024ELb0ELi4EEEvPKfPKiPiiii+0xaf8>
	ds_read_b32 v5, v4                                         // 0000000026F0: D86C0000 05000004
	s_or_b64 exec, exec, s[14:15]                              // 0000000026F8: 87FE0E7E
	s_sub_i32 s43, s1, s20                                     // 0000000026FC: 81AB1401
	s_min_u32 s42, s0, s42                                     // 000000002700: 83AA2A00
	v_mov_b32_e32 v8, 0                                        // 000000002704: 7E100280
	ds_read_b32 v10, v8 offset:4216                            // 000000002708: D86C1078 0A000008
	v_bfe_u32 v7, v0, 20, 10                                   // 000000002710: D1C80007 02292900
	s_movk_i32 s0, 0x3ff                                       // 000000002718: B00003FF
	v_cmp_ne_u32_e64 s[0:1], s0, v12                           // 00000000271C: D0CD0000 00021800
	s_waitcnt lgkmcnt(1)                                       // 000000002724: BF8CC17F
	v_add_u32_e32 v9, v5, v6                                   // 000000002728: 68120D05
	s_waitcnt lgkmcnt(0)                                       // 00000000272C: BF8CC07F
	v_add_u32_e32 v5, v10, v6                                  // 000000002730: 680A0D0A
	ds_write_b32 v1, v9                                        // 000000002734: D81A0000 00000901
	s_waitcnt lgkmcnt(0)                                       // 00000000273C: BF8CC07F
	s_barrier                                                  // 000000002740: BF8A0000
	s_movk_i32 s14, 0x800                                      // 000000002744: B00E0800
	v_cmp_gt_i32_e32 vcc, s14, v9                              // 000000002748: 7D88120E
	s_and_saveexec_b64 s[14:15], vcc                           // 00000000274C: BE8E206A
	s_cbranch_execz 22                                         // 000000002750: BF880016 <_ZN5aiter10DecodeTopKL19topk_per_row_decodeILi1024ELb0ELi4EEEvPKfPKiPiiii+0xbac>
	v_mov_b32_e32 v6, v5                                       // 000000002754: 7E0C0305
	s_and_saveexec_b64 s[20:21], s[0:1]                        // 000000002758: BE942000
	s_cbranch_execz 2                                          // 00000000275C: BF880002 <_ZN5aiter10DecodeTopKL19topk_per_row_decodeILi1024ELb0ELi4EEEvPKfPKiPiiii+0xb68>
	ds_read_b32 v6, v1 offset:4                                // 000000002760: D86C0004 06000001
	s_or_b64 exec, exec, s[20:21]                              // 000000002768: 87FE147E
	s_movk_i32 s20, 0x7ff                                      // 00000000276C: B01407FF
	s_waitcnt lgkmcnt(0)                                       // 000000002770: BF8CC07F
	v_cmp_lt_i32_e32 vcc, s20, v6                              // 000000002774: 7D820C14
	v_mov_b32_e32 v8, 0                                        // 000000002778: 7E100280
	s_and_saveexec_b64 s[20:21], vcc                           // 00000000277C: BE94206A
	s_cbranch_execz 9                                          // 000000002780: BF880009 <_ZN5aiter10DecodeTopKL19topk_per_row_decodeILi1024ELb0ELi4EEEvPKfPKiPiiii+0xba8>
	v_sub_u32_e32 v6, v6, v9                                   // 000000002784: 6A0C1306
	v_mov_b32_e32 v8, 0                                        // 000000002788: 7E100280
	ds_write_b32 v8, v12 offset:33100                          // 00000000278C: D81A814C 00000C08
	v_mov_b32_e32 v8, 0x8144                                   // 000000002794: 7E1002FF 00008144
	ds_write2_b32 v8, v6, v9 offset1:1                         // 00000000279C: D81C0100 00090608
	v_mov_b32_e32 v8, 1                                        // 0000000027A4: 7E100281
	s_or_b64 exec, exec, s[20:21]                              // 0000000027A8: 87FE147E
	s_or_b64 exec, exec, s[14:15]                              // 0000000027AC: 87FE0E7E
	s_min_u32 s14, s43, s39                                    // 0000000027B0: 838E272B
	v_mul_u32_u24_e32 v6, s42, v7                              // 0000000027B4: 100C0E2A
	v_bfe_u32 v0, v0, 10, 10                                   // 0000000027B8: D1C80000 02291500
	s_mul_i32 s14, s14, s38                                    // 0000000027C0: 920E260E
	s_mul_i32 s14, s14, s42                                    // 0000000027C4: 920E2A0E
	s_add_i32 s14, s14, 63                                     // 0000000027C8: 810EBF0E
	s_and_b32 s20, s14, 0x7fffffc0                             // 0000000027CC: 8614FF0E 7FFFFFC0
	s_cmp_lg_u32 s20, 64                                       // 0000000027D4: BF07C014
	s_cselect_b64 s[14:15], -1, 0                              // 0000000027D8: 858E80C1
	v_or_b32_dpp v7, v8, v8 row_shl:1 row_mask:0xf bank_mask:0xf bound_ctrl:1// 0000000027DC: 280E10FA FF090108
	s_nop 1                                                    // 0000000027E4: BF800001
	v_or_b32_dpp v7, v7, v7 row_shl:2 row_mask:0xf bank_mask:0xf bound_ctrl:1// 0000000027E8: 280E0EFA FF090207
	s_nop 1                                                    // 0000000027F0: BF800001
	v_or_b32_dpp v7, v7, v7 row_shl:4 row_mask:0xf bank_mask:0xf bound_ctrl:1// 0000000027F4: 280E0EFA FF090407
	s_nop 1                                                    // 0000000027FC: BF800001
	v_or_b32_dpp v7, v7, v7 row_shl:8 row_mask:0xf bank_mask:0xf bound_ctrl:1// 000000002800: 280E0EFA FF090807
	s_nop 1                                                    // 000000002808: BF800001
	v_mov_b32_dpp v8, v7 wave_shl:1 row_mask:0xf bank_mask:0xf bound_ctrl:1// 00000000280C: 7E1002FA FF093007
	s_nop 1                                                    // 000000002814: BF800001
	v_or_b32_dpp v7, v8, v7 row_mirror row_mask:0xf bank_mask:0xf bound_ctrl:1// 000000002818: 280E0EFA FF094008
	s_nop 0                                                    // 000000002820: BF800000
	v_readlane_b32 s21, v7, 32                                 // 000000002824: D2890015 00014107
	s_bitcmp1_b32 exec_hi, 0                                   // 00000000282C: BF0D807F
	s_cselect_b32 s21, s21, 0                                  // 000000002830: 85158015
	v_readlane_b32 s39, v7, 0                                  // 000000002834: D2890027 00010107
	s_or_b32 s42, s21, s39                                     // 00000000283C: 872A2715
	s_cmp_eq_u32 s20, 64                                       // 000000002840: BF06C014
	v_add_u32_e32 v0, v6, v0                                   // 000000002844: 68000106
	v_mad_u64_u32 v[6:7], s[20:21], v0, s38, v[12:13]          // 000000002848: D1E81406 04304D00
	v_lshrrev_b32_e32 v22, 6, v6                               // 000000002850: 202C0C86
	v_cmp_lt_u32_e64 s[20:21], 63, v6                          // 000000002854: D0C90014 00020CBF
	v_mov_b32_e32 v0, s42                                      // 00000000285C: 7E00022A
	s_cbranch_scc1 38                                          // 000000002860: BF850026 <_ZN5aiter10DecodeTopKL19topk_per_row_decodeILi1024ELb0ELi4EEEvPKfPKiPiiii+0xcfc>
	v_mbcnt_lo_u32_b32 v0, -1, 0                               // 000000002864: D28C0000 000100C1
	v_mbcnt_hi_u32_b32 v0, -1, v0                              // 00000000286C: D28D0000 000200C1
	v_or_b32_e32 v6, v0, v22                                   // 000000002874: 280C2D00
	v_cmp_eq_u32_e32 vcc, 0, v6                                // 000000002878: 7D940C80
	s_and_saveexec_b64 s[38:39], vcc                           // 00000000287C: BEA6206A
	s_cbranch_execz 4                                          // 000000002880: BF880004 <_ZN5aiter10DecodeTopKL19topk_per_row_decodeILi1024ELb0ELi4EEEvPKfPKiPiiii+0xc94>
	v_mov_b32_e32 v6, 0                                        // 000000002884: 7E0C0280
	v_mov_b32_e32 v7, s42                                      // 000000002888: 7E0E022A
	ds_write_b32 v6, v7 offset:32832                           // 00000000288C: D81A8040 00000706
	s_or_b64 exec, exec, s[38:39]                              // 000000002894: 87FE267E
	v_cmp_eq_u32_e32 vcc, 0, v0                                // 000000002898: 7D940080
	s_waitcnt lgkmcnt(0)                                       // 00000000289C: BF8CC07F
	s_barrier                                                  // 0000000028A0: BF8A0000
	s_and_b64 s[44:45], s[20:21], vcc                          // 0000000028A4: 86AC6A14
	s_and_saveexec_b64 s[38:39], s[44:45]                      // 0000000028A8: BEA6202C
	s_cbranch_execz 11                                         // 0000000028AC: BF88000B <_ZN5aiter10DecodeTopKL19topk_per_row_decodeILi1024ELb0ELi4EEEvPKfPKiPiiii+0xcdc>
	v_mbcnt_lo_u32_b32 v0, exec_lo, 0                          // 0000000028B0: D28C0000 0001007E
	v_mbcnt_hi_u32_b32 v0, exec_hi, v0                         // 0000000028B8: D28D0000 0002007F
	v_cmp_eq_u32_e32 vcc, 0, v0                                // 0000000028C0: 7D940080
	s_and_b64 exec, exec, vcc                                  // 0000000028C4: 86FE6A7E
	s_cbranch_execz 4                                          // 0000000028C8: BF880004 <_ZN5aiter10DecodeTopKL19topk_per_row_decodeILi1024ELb0ELi4EEEvPKfPKiPiiii+0xcdc>
	v_mov_b32_e32 v0, 0                                        // 0000000028CC: 7E000280
	v_mov_b32_e32 v6, s42                                      // 0000000028D0: 7E0C022A
	ds_or_b32 v0, v6 offset:32832                              // 0000000028D4: D8148040 00000600
	s_or_b64 exec, exec, s[38:39]                              // 0000000028DC: 87FE267E
	s_waitcnt lgkmcnt(0)                                       // 0000000028E0: BF8CC07F
	s_barrier                                                  // 0000000028E4: BF8A0000
	v_mov_b32_e32 v0, 0                                        // 0000000028E8: 7E000280
	ds_read_b32 v0, v0 offset:32832                            // 0000000028EC: D86C8040 00000000
	s_waitcnt lgkmcnt(0)                                       // 0000000028F4: BF8CC07F
	s_barrier                                                  // 0000000028F8: BF8A0000
	v_cmp_eq_u32_e32 vcc, 0, v0                                // 0000000028FC: 7D940080
	s_cbranch_vccz 250                                         // 000000002900: BF8600FA <_ZN5aiter10DecodeTopKL19topk_per_row_decodeILi1024ELb0ELi4EEEvPKfPKiPiiii+0x10ec>
	ds_read_b32 v0, v1 offset:4096                             // 000000002904: D86C1000 00000001
	s_waitcnt lgkmcnt(0)                                       // 00000000290C: BF8CC07F
	s_barrier                                                  // 000000002910: BF8A0000
	ds_write_b32 v3, v0                                        // 000000002914: D81A0000 00000003
	s_waitcnt lgkmcnt(0)                                       // 00000000291C: BF8CC07F
	s_barrier                                                  // 000000002920: BF8A0000
	s_and_saveexec_b64 s[38:39], s[18:19]                      // 000000002924: BEA62012
	s_cbranch_execz 128                                        // 000000002928: BF880080 <_ZN5aiter10DecodeTopKL19topk_per_row_decodeILi1024ELb0ELi4EEEvPKfPKiPiiii+0xf2c>
	ds_read2_b32 v[6:7], v2 offset1:1                          // 00000000292C: D86E0100 06000002
	ds_read2_b32 v[8:9], v2 offset0:2 offset1:3                // 000000002934: D86E0302 08000002
	ds_read2_b32 v[10:11], v2 offset0:4 offset1:5              // 00000000293C: D86E0504 0A000002
	ds_read2_b32 v[18:19], v2 offset0:6 offset1:7              // 000000002944: D86E0706 12000002
	s_waitcnt lgkmcnt(3)                                       // 00000000294C: BF8CC37F
	v_add_u32_e32 v3, v7, v6                                   // 000000002950: 68060D07
	s_waitcnt lgkmcnt(2)                                       // 000000002954: BF8CC27F
	v_add3_u32 v3, v3, v8, v9                                  // 000000002958: D1FF0003 04261103
	s_waitcnt lgkmcnt(1)                                       // 000000002960: BF8CC17F
	v_add3_u32 v3, v3, v10, v11                                // 000000002964: D1FF0003 042E1503
	ds_read2_b32 v[20:21], v2 offset0:8 offset1:9              // 00000000296C: D86E0908 14000002
	ds_read2_b32 v[24:25], v2 offset0:10 offset1:11            // 000000002974: D86E0B0A 18000002
	ds_read2_b32 v[26:27], v2 offset0:12 offset1:13            // 00000000297C: D86E0D0C 1A000002
	ds_read2_b32 v[28:29], v2 offset0:14 offset1:15            // 000000002984: D86E0F0E 1C000002
	s_waitcnt lgkmcnt(4)                                       // 00000000298C: BF8CC47F
	v_add3_u32 v3, v3, v18, v19                                // 000000002990: D1FF0003 044E2503
	s_waitcnt lgkmcnt(3)                                       // 000000002998: BF8CC37F
	v_add3_u32 v3, v3, v20, v21                                // 00000000299C: D1FF0003 04562903
	s_waitcnt lgkmcnt(2)                                       // 0000000029A4: BF8CC27F
	v_add3_u32 v3, v3, v24, v25                                // 0000000029A8: D1FF0003 04663103
	s_waitcnt lgkmcnt(1)                                       // 0000000029B0: BF8CC17F
	v_add3_u32 v3, v3, v26, v27                                // 0000000029B4: D1FF0003 046E3503
	s_waitcnt lgkmcnt(0)                                       // 0000000029BC: BF8CC07F
	v_add3_u32 v3, v3, v28, v29                                // 0000000029C0: D1FF0003 04763903
	v_mbcnt_lo_u32_b32 v15, -1, 0                              // 0000000029C8: D28C000F 000100C1
	v_mbcnt_hi_u32_b32 v15, -1, v15                            // 0000000029D0: D28D000F 00021EC1
	v_and_b32_e32 v23, 15, v15                                 // 0000000029D8: 262E1E8F
	v_mov_b32_dpp v30, v3 row_shr:1 row_mask:0xf bank_mask:0xf // 0000000029DC: 7E3C02FA FF011103
	v_cmp_ne_u32_e32 vcc, 0, v23                               // 0000000029E4: 7D9A2E80
	s_nop 1                                                    // 0000000029E8: BF800001
	v_cndmask_b32_e32 v30, 0, v30, vcc                         // 0000000029EC: 003C3C80
	v_add_u32_e32 v3, v30, v3                                  // 0000000029F0: 6806071E
	s_nop 1                                                    // 0000000029F4: BF800001
	v_mov_b32_dpp v30, v3 row_shr:2 row_mask:0xf bank_mask:0xf // 0000000029F8: 7E3C02FA FF011203
	v_cmp_lt_u32_e32 vcc, 1, v23                               // 000000002A00: 7D922E81
	s_nop 1                                                    // 000000002A04: BF800001
	v_cndmask_b32_e32 v30, 0, v30, vcc                         // 000000002A08: 003C3C80
	v_add_u32_e32 v3, v3, v30                                  // 000000002A0C: 68063D03
	s_nop 1                                                    // 000000002A10: BF800001
	v_mov_b32_dpp v30, v3 row_shr:4 row_mask:0xf bank_mask:0xf // 000000002A14: 7E3C02FA FF011403
	v_cmp_lt_u32_e32 vcc, 3, v23                               // 000000002A1C: 7D922E83
	s_nop 1                                                    // 000000002A20: BF800001
	v_cndmask_b32_e32 v30, 0, v30, vcc                         // 000000002A24: 003C3C80
	v_add_u32_e32 v3, v3, v30                                  // 000000002A28: 68063D03
	s_nop 1                                                    // 000000002A2C: BF800001
	v_mov_b32_dpp v30, v3 row_shr:8 row_mask:0xf bank_mask:0xf // 000000002A30: 7E3C02FA FF011803
	v_cmp_lt_u32_e32 vcc, 7, v23                               // 000000002A38: 7D922E87
	s_nop 1                                                    // 000000002A3C: BF800001
	v_cndmask_b32_e32 v23, 0, v30, vcc                         // 000000002A40: 002E3C80
	v_add_u32_e32 v3, v3, v23                                  // 000000002A44: 68062F03
	s_nop 1                                                    // 000000002A48: BF800001
	v_mov_b32_dpp v23, v3 row_bcast:15 row_mask:0xf bank_mask:0xf// 000000002A4C: 7E2E02FA FF014203
	v_bfe_i32 v30, v15, 4, 1                                   // 000000002A54: D1C9001E 0205090F
	v_and_b32_e32 v23, v30, v23                                // 000000002A5C: 262E2F1E
	v_add_u32_e32 v3, v3, v23                                  // 000000002A60: 68062F03
	s_nop 1                                                    // 000000002A64: BF800001
	v_mov_b32_dpp v23, v3 row_bcast:31 row_mask:0xf bank_mask:0xf// 000000002A68: 7E2E02FA FF014303
	v_cmp_lt_u32_e32 vcc, 31, v15                              // 000000002A70: 7D921E9F
	s_nop 1                                                    // 000000002A74: BF800001
	v_cndmask_b32_e32 v23, 0, v23, vcc                         // 000000002A78: 002E2E80
	v_add_u32_e32 v3, v3, v23                                  // 000000002A7C: 68062F03
	v_add_u32_e32 v23, -1, v15                                 // 000000002A80: 682E1EC1
	v_and_b32_e32 v30, 64, v15                                 // 000000002A84: 263C1EC0
	v_cmp_lt_i32_e32 vcc, v23, v30                             // 000000002A88: 7D823D17
	s_nop 1                                                    // 000000002A8C: BF800001
	v_cndmask_b32_e32 v15, v23, v15, vcc                       // 000000002A90: 001E1F17
	v_lshlrev_b32_e32 v15, 2, v15                              // 000000002A94: 241E1E82
	ds_bpermute_b32 v3, v15, v3                                // 000000002A98: D87E0000 0300030F
	s_waitcnt lgkmcnt(0)                                       // 000000002AA0: BF8CC07F
	v_add_u32_e32 v3, v3, v6                                   // 000000002AA4: 68060D03
	v_cndmask_b32_e64 v0, v3, v0, s[16:17]                     // 000000002AA8: D1000000 00420103
	v_add_u32_e32 v3, v0, v7                                   // 000000002AB0: 68060F00
	ds_write2_b32 v2, v0, v3 offset1:1                         // 000000002AB4: D81C0100 00030002
	v_add_u32_e32 v0, v3, v8                                   // 000000002ABC: 68001103
	v_add_u32_e32 v3, v0, v9                                   // 000000002AC0: 68061300
	ds_write2_b32 v2, v0, v3 offset0:2 offset1:3               // 000000002AC4: D81C0302 00030002
	v_add_u32_e32 v0, v3, v10                                  // 000000002ACC: 68001503
	v_add_u32_e32 v3, v0, v11                                  // 000000002AD0: 68061700
	ds_write2_b32 v2, v0, v3 offset0:4 offset1:5               // 000000002AD4: D81C0504 00030002
	v_add_u32_e32 v0, v3, v18                                  // 000000002ADC: 68002503
	v_add_u32_e32 v3, v0, v19                                  // 000000002AE0: 68062700
	ds_write2_b32 v2, v0, v3 offset0:6 offset1:7               // 000000002AE4: D81C0706 00030002
	v_add_u32_e32 v0, v3, v20                                  // 000000002AEC: 68002903
	v_add_u32_e32 v3, v0, v21                                  // 000000002AF0: 68062B00
	ds_write2_b32 v2, v0, v3 offset0:8 offset1:9               // 000000002AF4: D81C0908 00030002
	v_add_u32_e32 v0, v3, v24                                  // 000000002AFC: 68003103
	v_add_u32_e32 v3, v0, v25                                  // 000000002B00: 68063300
	ds_write2_b32 v2, v0, v3 offset0:10 offset1:11             // 000000002B04: D81C0B0A 00030002
	v_add_u32_e32 v0, v3, v26                                  // 000000002B0C: 68003503
	v_add_u32_e32 v3, v0, v27                                  // 000000002B10: 68063700
	ds_write2_b32 v2, v0, v3 offset0:12 offset1:13             // 000000002B14: D81C0D0C 00030002
	v_add_u32_e32 v0, v3, v28                                  // 000000002B1C: 68003903
	v_add_u32_e32 v3, v0, v29                                  // 000000002B20: 68063B00
	ds_write2_b32 v2, v0, v3 offset0:14 offset1:15             // 000000002B24: D81C0F0E 00030002
	s_or_b64 exec, exec, s[38:39]                              // 000000002B2C: 87FE267E
	s_waitcnt lgkmcnt(0)                                       // 000000002B30: BF8CC07F
	s_barrier                                                  // 000000002B34: BF8A0000
	v_mov_b32_e32 v0, 0                                        // 000000002B38: 7E000280
	v_mov_b32_e32 v2, 0                                        // 000000002B3C: 7E040280
	s_and_saveexec_b64 s[18:19], s[24:25]                      // 000000002B40: BE922018
	s_cbranch_execz 2                                          // 000000002B44: BF880002 <_ZN5aiter10DecodeTopKL19topk_per_row_decodeILi1024ELb0ELi4EEEvPKfPKiPiiii+0xf50>
	ds_read_b32 v2, v4                                         // 000000002B48: D86C0000 02000004
	s_or_b64 exec, exec, s[18:19]                              // 000000002B50: 87FE127E
	ds_read_b32 v3, v0 offset:4216                             // 000000002B54: D86C1078 03000000
	s_waitcnt lgkmcnt(1)                                       // 000000002B5C: BF8CC17F
	v_add_u32_e32 v2, v2, v5                                   // 000000002B60: 68040B02
	ds_write_b32 v1, v2 offset:4096                            // 000000002B64: D81A1000 00000201
	s_waitcnt lgkmcnt(0)                                       // 000000002B6C: BF8CC07F
	s_barrier                                                  // 000000002B70: BF8A0000
	s_movk_i32 s18, 0x800                                      // 000000002B74: B0120800
	v_cmp_gt_i32_e32 vcc, s18, v2                              // 000000002B78: 7D880412
	s_and_saveexec_b64 s[18:19], vcc                           // 000000002B7C: BE92206A
	s_cbranch_execz 24                                         // 000000002B80: BF880018 <_ZN5aiter10DecodeTopKL19topk_per_row_decodeILi1024ELb0ELi4EEEvPKfPKiPiiii+0xfe4>
	v_add_u32_e32 v3, v3, v5                                   // 000000002B84: 68060B03
	s_and_saveexec_b64 s[24:25], s[0:1]                        // 000000002B88: BE982000
	s_cbranch_execz 2                                          // 000000002B8C: BF880002 <_ZN5aiter10DecodeTopKL19topk_per_row_decodeILi1024ELb0ELi4EEEvPKfPKiPiiii+0xf98>
	ds_read_b32 v3, v1 offset:4100                             // 000000002B90: D86C1004 03000001
	s_or_b64 exec, exec, s[24:25]                              // 000000002B98: 87FE187E
	s_movk_i32 s0, 0x7ff                                       // 000000002B9C: B00007FF
	s_waitcnt lgkmcnt(0)                                       // 000000002BA0: BF8CC07F
	v_cmp_lt_i32_e32 vcc, s0, v3                               // 000000002BA4: 7D820600
	v_mov_b32_e32 v0, 0                                        // 000000002BA8: 7E000280
	s_and_saveexec_b64 s[0:1], vcc                             // 000000002BAC: BE80206A
	s_cbranch_execz 11                                         // 000000002BB0: BF88000B <_ZN5aiter10DecodeTopKL19topk_per_row_decodeILi1024ELb0ELi4EEEvPKfPKiPiiii+0xfe0>
	v_or_b32_e32 v0, 0x400, v12                                // 000000002BB4: 280018FF 00000400
	v_sub_u32_e32 v1, v3, v2                                   // 000000002BBC: 6A020503
	v_mov_b32_e32 v3, 0                                        // 000000002BC0: 7E060280
	ds_write_b32 v3, v0 offset:33100                           // 000000002BC4: D81A814C 00000003
	v_mov_b32_e32 v0, 0x8144                                   // 000000002BCC: 7E0002FF 00008144
	ds_write2_b32 v0, v1, v2 offset1:1                         // 000000002BD4: D81C0100 00020100
	v_mov_b32_e32 v0, 1                                        // 000000002BDC: 7E000281
	s_or_b64 exec, exec, s[0:1]                                // 000000002BE0: 87FE007E
	s_or_b64 exec, exec, s[18:19]                              // 000000002BE4: 87FE127E
	v_or_b32_dpp v0, v0, v0 row_shl:1 row_mask:0xf bank_mask:0xf bound_ctrl:1// 000000002BE8: 280000FA FF090100
	s_nop 1                                                    // 000000002BF0: BF800001
	v_or_b32_dpp v0, v0, v0 row_shl:2 row_mask:0xf bank_mask:0xf bound_ctrl:1// 000000002BF4: 280000FA FF090200
	s_nop 1                                                    // 000000002BFC: BF800001
	v_or_b32_dpp v0, v0, v0 row_shl:4 row_mask:0xf bank_mask:0xf bound_ctrl:1// 000000002C00: 280000FA FF090400
	s_nop 1                                                    // 000000002C08: BF800001
	v_or_b32_dpp v0, v0, v0 row_shl:8 row_mask:0xf bank_mask:0xf bound_ctrl:1// 000000002C0C: 280000FA FF090800
	s_nop 1                                                    // 000000002C14: BF800001
	v_mov_b32_dpp v1, v0 wave_shl:1 row_mask:0xf bank_mask:0xf bound_ctrl:1// 000000002C18: 7E0202FA FF093000
	s_nop 1                                                    // 000000002C20: BF800001
	v_or_b32_dpp v0, v1, v0 row_mirror row_mask:0xf bank_mask:0xf bound_ctrl:1// 000000002C24: 280000FA FF094001
	s_nop 0                                                    // 000000002C2C: BF800000
	v_readlane_b32 s0, v0, 32                                  // 000000002C30: D2890000 00014100
	s_andn2_b64 vcc, exec, s[14:15]                            // 000000002C38: 89EA0E7E
	v_readlane_b32 s1, v0, 0                                   // 000000002C3C: D2890001 00010100
	s_cbranch_vccnz 41                                         // 000000002C44: BF870029 <_ZN5aiter10DecodeTopKL19topk_per_row_decodeILi1024ELb0ELi4EEEvPKfPKiPiiii+0x10ec>
	s_bitcmp1_b32 exec_hi, 0                                   // 000000002C48: BF0D807F
	s_cselect_b32 s0, s0, 0                                    // 000000002C4C: 85008000
	s_or_b32 s14, s0, s1                                       // 000000002C50: 870E0100
	v_mbcnt_lo_u32_b32 v0, -1, 0                               // 000000002C54: D28C0000 000100C1
	v_mbcnt_hi_u32_b32 v0, -1, v0                              // 000000002C5C: D28D0000 000200C1
	v_or_b32_e32 v1, v0, v22                                   // 000000002C64: 28022D00
	v_cmp_eq_u32_e32 vcc, 0, v1                                // 000000002C68: 7D940280
	s_and_saveexec_b64 s[0:1], vcc                             // 000000002C6C: BE80206A
	s_cbranch_execz 4                                          // 000000002C70: BF880004 <_ZN5aiter10DecodeTopKL19topk_per_row_decodeILi1024ELb0ELi4EEEvPKfPKiPiiii+0x1084>
	v_mov_b32_e32 v1, 0                                        // 000000002C74: 7E020280
	v_mov_b32_e32 v2, s14                                      // 000000002C78: 7E04020E
	ds_write_b32 v1, v2 offset:32832                           // 000000002C7C: D81A8040 00000201
	s_or_b64 exec, exec, s[0:1]                                // 000000002C84: 87FE007E
	v_cmp_eq_u32_e32 vcc, 0, v0                                // 000000002C88: 7D940080
	s_waitcnt lgkmcnt(0)                                       // 000000002C8C: BF8CC07F
	s_barrier                                                  // 000000002C90: BF8A0000
	s_and_b64 s[18:19], s[20:21], vcc                          // 000000002C94: 86926A14
	s_and_saveexec_b64 s[0:1], s[18:19]                        // 000000002C98: BE802012
	s_cbranch_execz 11                                         // 000000002C9C: BF88000B <_ZN5aiter10DecodeTopKL19topk_per_row_decodeILi1024ELb0ELi4EEEvPKfPKiPiiii+0x10cc>
	v_mbcnt_lo_u32_b32 v0, exec_lo, 0                          // 000000002CA0: D28C0000 0001007E
	v_mbcnt_hi_u32_b32 v0, exec_hi, v0                         // 000000002CA8: D28D0000 0002007F
	v_cmp_eq_u32_e32 vcc, 0, v0                                // 000000002CB0: 7D940080
	s_and_b64 exec, exec, vcc                                  // 000000002CB4: 86FE6A7E
	s_cbranch_execz 4                                          // 000000002CB8: BF880004 <_ZN5aiter10DecodeTopKL19topk_per_row_decodeILi1024ELb0ELi4EEEvPKfPKiPiiii+0x10cc>
	v_mov_b32_e32 v0, 0                                        // 000000002CBC: 7E000280
	v_mov_b32_e32 v1, s14                                      // 000000002CC0: 7E02020E
	ds_or_b32 v0, v1 offset:32832                              // 000000002CC4: D8148040 00000100
	s_or_b64 exec, exec, s[0:1]                                // 000000002CCC: 87FE007E
	s_waitcnt lgkmcnt(0)                                       // 000000002CD0: BF8CC07F
	s_barrier                                                  // 000000002CD4: BF8A0000
	v_mov_b32_e32 v0, 0                                        // 000000002CD8: 7E000280
	ds_read_b32 v0, v0 offset:32832                            // 000000002CDC: D86C8040 00000000
	s_waitcnt lgkmcnt(0)                                       // 000000002CE4: BF8CC07F
	s_barrier                                                  // 000000002CE8: BF8A0000
	s_waitcnt lgkmcnt(0)                                       // 000000002CEC: BF8CC07F
	s_barrier                                                  // 000000002CF0: BF8A0000
	s_mov_b32 s0, 0x8000                                       // 000000002CF4: BE8000FF 00008000
	v_add_u32_e64 v0, s0, 0                                    // 000000002CFC: D1340000 00010000
	ds_read2_b32 v[18:19], v0 offset0:81 offset1:83            // 000000002D04: D86E5351 12000000
	v_mov_b32_e32 v23, 0                                       // 000000002D0C: 7E2E0280
	s_waitcnt lgkmcnt(0)                                       // 000000002D10: BF8CC07F
	v_readfirstlane_b32 s38, v18                               // 000000002D14: 7E4C0512
	v_min_i32_e32 v18, 0x804, v18                              // 000000002D18: 182424FF 00000804
	s_and_saveexec_b64 s[18:19], s[22:23]                      // 000000002D20: BE922016
	s_cbranch_execz 414                                        // 000000002D24: BF88019E <_ZN5aiter10DecodeTopKL19topk_per_row_decodeILi1024ELb0ELi4EEEvPKfPKiPiiii+0x17a0>
	v_lshl_add_u32 v24, v12, 2, s34                            // 000000002D28: D1FD0018 0089050C
	v_mov_b32_e32 v15, 0                                       // 000000002D30: 7E1E0280
	s_lshl_b64 s[0:1], s[34:35], 2                             // 000000002D34: 8E808222
	s_add_u32 s0, s4, s0                                       // 000000002D38: 80000004
	s_addc_u32 s1, s5, s1                                      // 000000002D3C: 82010105
	s_add_u32 s0, s0, s36                                      // 000000002D40: 80002400
	s_addc_u32 s1, s1, s37                                     // 000000002D44: 82012501
	v_lshl_add_u64 v[20:21], s[0:1], 0, v[14:15]               // 000000002D48: D2080014 04390000
	s_mov_b64 s[20:21], 0                                      // 000000002D50: BE940180
	v_mov_b32_e32 v25, 1                                       // 000000002D54: 7E320281
	s_mov_b64 s[22:23], 0x4000                                 // 000000002D58: BE9601FF 00004000
	v_mov_b32_e32 v23, 0                                       // 000000002D60: 7E2E0280
	v_mov_b32_e32 v26, v12                                     // 000000002D64: 7E34030C
	s_branch 16                                                // 000000002D68: BF820010 <_ZN5aiter10DecodeTopKL19topk_per_row_decodeILi1024ELb0ELi4EEEvPKfPKiPiiii+0x11ac>
	s_or_b64 exec, exec, s[4:5]                                // 000000002D6C: 87FE047E
	v_mov_b32_e32 v8, 0                                        // 000000002D70: 7E100280
	s_or_b64 exec, exec, s[0:1]                                // 000000002D74: 87FE007E
	v_mov_b32_e32 v23, v8                                      // 000000002D78: 7E2E0308
	s_or_b64 exec, exec, s[34:35]                              // 000000002D7C: 87FE227E
	s_or_b64 exec, exec, s[24:25]                              // 000000002D80: 87FE187E
	v_add_u32_e32 v26, 0x400, v26                              // 000000002D84: 683434FF 00000400
	v_add_u32_e32 v24, 0x1000, v24                             // 000000002D8C: 683030FF 00001000
	v_cmp_le_i32_e32 vcc, s41, v26                             // 000000002D94: 7D863429
	s_or_b64 s[20:21], vcc, s[20:21]                           // 000000002D98: 8794146A
	v_lshl_add_u64 v[20:21], v[20:21], 0, s[22:23]             // 000000002D9C: D2080014 00590114
	s_andn2_b64 exec, exec, s[20:21]                           // 000000002DA4: 89FE147E
	s_cbranch_execz 488                                        // 000000002DA8: BF8801E8 <_ZN5aiter10DecodeTopKL19topk_per_row_decodeILi1024ELb0ELi4EEEvPKfPKiPiiii+0x194c>
	global_load_dwordx4 v[8:11], v[20:21], off                 // 000000002DAC: DC5C8000 087F0014
	s_waitcnt vmcnt(0)                                         // 000000002DB4: BF8C0F70
	v_cvt_f16_f32_e32 v27, v8                                  // 000000002DB8: 7E361508
	v_xor_b32_e32 v28, -1, v27                                 // 000000002DBC: 2A3836C1
	v_and_b32_e32 v28, 0x7fe0, v28                             // 000000002DC0: 263838FF 00007FE0
	v_cmp_gt_i16_e32 vcc, 0, v27                               // 000000002DC8: 7D483680
	s_nop 1                                                    // 000000002DCC: BF800001
	v_cndmask_b32_e32 v27, v28, v27, vcc                       // 000000002DD0: 0036371C
	v_lshrrev_b16_e32 v27, 5, v27                              // 000000002DD4: 56363685
	v_cmp_ge_u32_e32 vcc, v19, v27                             // 000000002DD8: 7D9C3713
	s_and_saveexec_b64 s[24:25], vcc                           // 000000002DDC: BE98206A
	s_cbranch_execz 83                                         // 000000002DE0: BF880053 <_ZN5aiter10DecodeTopKL19topk_per_row_decodeILi1024ELb0ELi4EEEvPKfPKiPiiii+0x1330>
	v_cmp_ne_u32_e32 vcc, v19, v27                             // 000000002DE4: 7D9A3713
	s_and_saveexec_b64 s[0:1], vcc                             // 000000002DE8: BE80206A
	s_xor_b64 s[0:1], exec, s[0:1]                             // 000000002DEC: 8880007E
	s_cbranch_execz 7                                          // 000000002DF0: BF880007 <_ZN5aiter10DecodeTopKL19topk_per_row_decodeILi1024ELb0ELi4EEEvPKfPKiPiiii+0x1210>
	v_lshlrev_b32_e32 v27, 2, v27                              // 000000002DF4: 24363682
	ds_add_rtn_u32 v27, v27, v25 offset:24640                  // 000000002DF8: D8406040 1B00191B
	s_waitcnt lgkmcnt(0)                                       // 000000002E00: BF8CC07F
	v_lshlrev_b32_e32 v27, 2, v27                              // 000000002E04: 24363682
	ds_write_b32 v27, v24 offset:16448                         // 000000002E08: D81A4040 0000181B
	s_andn2_saveexec_b64 s[34:35], s[0:1]                      // 000000002E10: BEA22300
	s_cbranch_execz 69                                         // 000000002E14: BF880045 <_ZN5aiter10DecodeTopKL19topk_per_row_decodeILi1024ELb0ELi4EEEvPKfPKiPiiii+0x132c>
	v_cmp_eq_u32_e32 vcc, 3, v23                               // 000000002E18: 7D942E83
	s_nop 1                                                    // 000000002E1C: BF800001
	v_cndmask_b32_e32 v3, v3, v8, vcc                          // 000000002E20: 00061103
	v_cmp_eq_u32_e64 s[0:1], 2, v23                            // 000000002E24: D0CA0000 00022E82
	s_nop 1                                                    // 000000002E2C: BF800001
	v_cndmask_b32_e64 v2, v2, v8, s[0:1]                       // 000000002E30: D1000002 00021102
	v_cmp_eq_u32_e64 s[4:5], 1, v23                            // 000000002E38: D0CA0004 00022E81
	s_nop 1                                                    // 000000002E40: BF800001
	v_cndmask_b32_e64 v1, v1, v8, s[4:5]                       // 000000002E44: D1000001 00121101
	v_cmp_eq_u32_e64 s[14:15], 0, v23                          // 000000002E4C: D0CA000E 00022E80
	s_nop 1                                                    // 000000002E54: BF800001
	v_cndmask_b32_e64 v0, v0, v8, s[14:15]                     // 000000002E58: D1000000 003A1100
	v_cndmask_b32_e32 v7, v7, v24, vcc                         // 000000002E60: 000E3107
	v_cndmask_b32_e64 v6, v6, v24, s[0:1]                      // 000000002E64: D1000006 00023106
	v_cndmask_b32_e64 v5, v5, v24, s[4:5]                      // 000000002E6C: D1000005 00123105
	v_cndmask_b32_e64 v4, v4, v24, s[14:15]                    // 000000002E74: D1000004 003A3104
	v_add_u32_e32 v8, 1, v23                                   // 000000002E7C: 68102E81
	v_cmp_lt_i32_e32 vcc, 2, v23                               // 000000002E80: 7D822E82
	s_and_saveexec_b64 s[0:1], vcc                             // 000000002E84: BE80206A
	s_cbranch_execz 38                                         // 000000002E88: BF880026 <_ZN5aiter10DecodeTopKL19topk_per_row_decodeILi1024ELb0ELi4EEEvPKfPKiPiiii+0x1324>
	s_mov_b64 s[14:15], exec                                   // 000000002E8C: BE8E017E
	v_mbcnt_lo_u32_b32 v8, s14, 0                              // 000000002E90: D28C0008 0001000E
	v_mbcnt_hi_u32_b32 v8, s15, v8                             // 000000002E98: D28D0008 0002100F
	v_cmp_eq_u32_e32 vcc, 0, v8                                // 000000002EA0: 7D941080
	s_and_saveexec_b64 s[4:5], vcc                             // 000000002EA4: BE84206A
	s_cbranch_execz 5                                          // 000000002EA8: BF880005 <_ZN5aiter10DecodeTopKL19topk_per_row_decodeILi1024ELb0ELi4EEEvPKfPKiPiiii+0x12c0>
	s_bcnt1_i32_b64 s14, s[14:15]                              // 000000002EAC: BE8E0D0E
	s_lshl_b32 s14, s14, 2                                     // 000000002EB0: 8E0E820E
	v_mov_b32_e32 v23, s14                                     // 000000002EB4: 7E2E020E
	ds_add_rtn_u32 v23, v15, v23 offset:33088                  // 000000002EB8: D8408140 1700170F
	s_or_b64 exec, exec, s[4:5]                                // 000000002EC0: 87FE047E
	s_waitcnt lgkmcnt(0)                                       // 000000002EC4: BF8CC07F
	v_readfirstlane_b32 s4, v23                                // 000000002EC8: 7E080517
	s_nop 1                                                    // 000000002ECC: BF800001
	v_lshl_add_u32 v8, v8, 2, s4                               // 000000002ED0: D1FD0008 00110508
	v_add_u32_e32 v23, 4, v8                                   // 000000002ED8: 682E1084
	v_cmp_le_i32_e32 vcc, v23, v18                             // 000000002EDC: 7D862517
	s_and_saveexec_b64 s[4:5], vcc                             // 000000002EE0: BE84206A
	s_cbranch_execz 13                                         // 000000002EE4: BF88000D <_ZN5aiter10DecodeTopKL19topk_per_row_decodeILi1024ELb0ELi4EEEvPKfPKiPiiii+0x131c>
	v_lshlrev_b32_e32 v8, 2, v8                                // 000000002EE8: 24101082
	v_add_u32_e32 v23, 0x2010, v8                              // 000000002EEC: 682E10FF 00002010
	v_add_u32_e32 v27, 0x2018, v8                              // 000000002EF4: 683610FF 00002018
	ds_write2_b32 v27, v2, v3 offset1:1                        // 000000002EFC: D81C0100 0003021B
	ds_write2_b32 v23, v0, v1 offset1:1                        // 000000002F04: D81C0100 00010017
	ds_write2_b32 v8, v6, v7 offset0:2 offset1:3               // 000000002F0C: D81C0302 00070608
	ds_write2_b32 v8, v4, v5 offset1:1                         // 000000002F14: D81C0100 00050408
	s_or_b64 exec, exec, s[4:5]                                // 000000002F1C: 87FE047E
	v_mov_b32_e32 v8, 0                                        // 000000002F20: 7E100280
	s_or_b64 exec, exec, s[0:1]                                // 000000002F24: 87FE007E
	v_mov_b32_e32 v23, v8                                      // 000000002F28: 7E2E0308
	s_or_b64 exec, exec, s[34:35]                              // 000000002F2C: 87FE227E
	s_or_b64 exec, exec, s[24:25]                              // 000000002F30: 87FE187E
	v_cvt_f16_f32_e32 v8, v9                                   // 000000002F34: 7E101509
	v_xor_b32_e32 v27, -1, v8                                  // 000000002F38: 2A3610C1
	v_and_b32_e32 v27, 0x7fe0, v27                             // 000000002F3C: 263636FF 00007FE0
	v_cmp_gt_i16_e32 vcc, 0, v8                                // 000000002F44: 7D481080
	s_nop 1                                                    // 000000002F48: BF800001
	v_cndmask_b32_e32 v8, v27, v8, vcc                         // 000000002F4C: 0010111B
	v_lshrrev_b16_e32 v27, 5, v8                               // 000000002F50: 56361085
	v_cmp_ge_u32_e32 vcc, v19, v27                             // 000000002F54: 7D9C3713
	s_and_saveexec_b64 s[24:25], vcc                           // 000000002F58: BE98206A
	s_cbranch_execz 84                                         // 000000002F5C: BF880054 <_ZN5aiter10DecodeTopKL19topk_per_row_decodeILi1024ELb0ELi4EEEvPKfPKiPiiii+0x14b0>
	v_add_u32_e32 v8, 1, v24                                   // 000000002F60: 68103081
	v_cmp_ne_u32_e32 vcc, v19, v27                             // 000000002F64: 7D9A3713
	s_and_saveexec_b64 s[0:1], vcc                             // 000000002F68: BE80206A
	s_xor_b64 s[0:1], exec, s[0:1]                             // 000000002F6C: 8880007E
	s_cbranch_execz 7                                          // 000000002F70: BF880007 <_ZN5aiter10DecodeTopKL19topk_per_row_decodeILi1024ELb0ELi4EEEvPKfPKiPiiii+0x1390>
	v_lshlrev_b32_e32 v27, 2, v27                              // 000000002F74: 24363682
	ds_add_rtn_u32 v27, v27, v25 offset:24640                  // 000000002F78: D8406040 1B00191B
	s_waitcnt lgkmcnt(0)                                       // 000000002F80: BF8CC07F
	v_lshlrev_b32_e32 v27, 2, v27                              // 000000002F84: 24363682
	ds_write_b32 v27, v8 offset:16448                          // 000000002F88: D81A4040 0000081B
	s_andn2_saveexec_b64 s[34:35], s[0:1]                      // 000000002F90: BEA22300
	s_cbranch_execz 69                                         // 000000002F94: BF880045 <_ZN5aiter10DecodeTopKL19topk_per_row_decodeILi1024ELb0ELi4EEEvPKfPKiPiiii+0x14ac>
	v_cmp_eq_u32_e32 vcc, 3, v23                               // 000000002F98: 7D942E83
	s_nop 1                                                    // 000000002F9C: BF800001
	v_cndmask_b32_e32 v3, v3, v9, vcc                          // 000000002FA0: 00061303
	v_cmp_eq_u32_e64 s[0:1], 2, v23                            // 000000002FA4: D0CA0000 00022E82
	s_nop 1                                                    // 000000002FAC: BF800001
	v_cndmask_b32_e64 v2, v2, v9, s[0:1]                       // 000000002FB0: D1000002 00021302
	v_cmp_eq_u32_e64 s[4:5], 1, v23                            // 000000002FB8: D0CA0004 00022E81
	s_nop 1                                                    // 000000002FC0: BF800001
	v_cndmask_b32_e64 v1, v1, v9, s[4:5]                       // 000000002FC4: D1000001 00121301
	v_cmp_eq_u32_e64 s[14:15], 0, v23                          // 000000002FCC: D0CA000E 00022E80
	s_nop 1                                                    // 000000002FD4: BF800001
	v_cndmask_b32_e64 v0, v0, v9, s[14:15]                     // 000000002FD8: D1000000 003A1300
	v_cndmask_b32_e32 v7, v7, v8, vcc                          // 000000002FE0: 000E1107
	v_cndmask_b32_e64 v6, v6, v8, s[0:1]                       // 000000002FE4: D1000006 00021106
	v_cndmask_b32_e64 v5, v5, v8, s[4:5]                       // 000000002FEC: D1000005 00121105
	v_cndmask_b32_e64 v4, v4, v8, s[14:15]                     // 000000002FF4: D1000004 003A1104
	v_add_u32_e32 v8, 1, v23                                   // 000000002FFC: 68102E81
	v_cmp_lt_i32_e32 vcc, 2, v23                               // 000000003000: 7D822E82
	s_and_saveexec_b64 s[0:1], vcc                             // 000000003004: BE80206A
	s_cbranch_execz 38                                         // 000000003008: BF880026 <_ZN5aiter10DecodeTopKL19topk_per_row_decodeILi1024ELb0ELi4EEEvPKfPKiPiiii+0x14a4>
	s_mov_b64 s[14:15], exec                                   // 00000000300C: BE8E017E
	v_mbcnt_lo_u32_b32 v8, s14, 0                              // 000000003010: D28C0008 0001000E
	v_mbcnt_hi_u32_b32 v8, s15, v8                             // 000000003018: D28D0008 0002100F
	v_cmp_eq_u32_e32 vcc, 0, v8                                // 000000003020: 7D941080
	s_and_saveexec_b64 s[4:5], vcc                             // 000000003024: BE84206A
	s_cbranch_execz 5                                          // 000000003028: BF880005 <_ZN5aiter10DecodeTopKL19topk_per_row_decodeILi1024ELb0ELi4EEEvPKfPKiPiiii+0x1440>
	s_bcnt1_i32_b64 s14, s[14:15]                              // 00000000302C: BE8E0D0E
	s_lshl_b32 s14, s14, 2                                     // 000000003030: 8E0E820E
	v_mov_b32_e32 v9, s14                                      // 000000003034: 7E12020E
	ds_add_rtn_u32 v9, v15, v9 offset:33088                    // 000000003038: D8408140 0900090F
	s_or_b64 exec, exec, s[4:5]                                // 000000003040: 87FE047E
	s_waitcnt lgkmcnt(0)                                       // 000000003044: BF8CC07F
	v_readfirstlane_b32 s4, v9                                 // 000000003048: 7E080509
	s_nop 1                                                    // 00000000304C: BF800001
	v_lshl_add_u32 v8, v8, 2, s4                               // 000000003050: D1FD0008 00110508
	v_add_u32_e32 v9, 4, v8                                    // 000000003058: 68121084
	v_cmp_le_i32_e32 vcc, v9, v18                              // 00000000305C: 7D862509
	s_and_saveexec_b64 s[4:5], vcc                             // 000000003060: BE84206A
	s_cbranch_execz 13                                         // 000000003064: BF88000D <_ZN5aiter10DecodeTopKL19topk_per_row_decodeILi1024ELb0ELi4EEEvPKfPKiPiiii+0x149c>
	v_lshlrev_b32_e32 v8, 2, v8                                // 000000003068: 24101082
	v_add_u32_e32 v9, 0x2010, v8                               // 00000000306C: 681210FF 00002010
	v_add_u32_e32 v23, 0x2018, v8                              // 000000003074: 682E10FF 00002018
	ds_write2_b32 v23, v2, v3 offset1:1                        // 00000000307C: D81C0100 00030217
	ds_write2_b32 v9, v0, v1 offset1:1                         // 000000003084: D81C0100 00010009
	ds_write2_b32 v8, v6, v7 offset0:2 offset1:3               // 00000000308C: D81C0302 00070608
	ds_write2_b32 v8, v4, v5 offset1:1                         // 000000003094: D81C0100 00050408
	s_or_b64 exec, exec, s[4:5]                                // 00000000309C: 87FE047E
	v_mov_b32_e32 v8, 0                                        // 0000000030A0: 7E100280
	s_or_b64 exec, exec, s[0:1]                                // 0000000030A4: 87FE007E
	v_mov_b32_e32 v23, v8                                      // 0000000030A8: 7E2E0308
	s_or_b64 exec, exec, s[34:35]                              // 0000000030AC: 87FE227E
	s_or_b64 exec, exec, s[24:25]                              // 0000000030B0: 87FE187E
	v_cvt_f16_f32_e32 v8, v10                                  // 0000000030B4: 7E10150A
	v_xor_b32_e32 v9, -1, v8                                   // 0000000030B8: 2A1210C1
	v_and_b32_e32 v9, 0x7fe0, v9                               // 0000000030BC: 261212FF 00007FE0
	v_cmp_gt_i16_e32 vcc, 0, v8                                // 0000000030C4: 7D481080
	s_nop 1                                                    // 0000000030C8: BF800001
	v_cndmask_b32_e32 v8, v9, v8, vcc                          // 0000000030CC: 00101109
	v_lshrrev_b16_e32 v9, 5, v8                                // 0000000030D0: 56121085
	v_cmp_ge_u32_e32 vcc, v19, v9                              // 0000000030D4: 7D9C1313
	s_and_saveexec_b64 s[24:25], vcc                           // 0000000030D8: BE98206A
	s_cbranch_execz 84                                         // 0000000030DC: BF880054 <_ZN5aiter10DecodeTopKL19topk_per_row_decodeILi1024ELb0ELi4EEEvPKfPKiPiiii+0x1630>
	v_add_u32_e32 v8, 2, v24                                   // 0000000030E0: 68103082
	v_cmp_ne_u32_e32 vcc, v19, v9                              // 0000000030E4: 7D9A1313
	s_and_saveexec_b64 s[0:1], vcc                             // 0000000030E8: BE80206A
	s_xor_b64 s[0:1], exec, s[0:1]                             // 0000000030EC: 8880007E
	s_cbranch_execz 7                                          // 0000000030F0: BF880007 <_ZN5aiter10DecodeTopKL19topk_per_row_decodeILi1024ELb0ELi4EEEvPKfPKiPiiii+0x1510>
	v_lshlrev_b32_e32 v9, 2, v9                                // 0000000030F4: 24121282
	ds_add_rtn_u32 v9, v9, v25 offset:24640                    // 0000000030F8: D8406040 09001909
	s_waitcnt lgkmcnt(0)                                       // 000000003100: BF8CC07F
	v_lshlrev_b32_e32 v9, 2, v9                                // 000000003104: 24121282
	ds_write_b32 v9, v8 offset:16448                           // 000000003108: D81A4040 00000809
	s_andn2_saveexec_b64 s[34:35], s[0:1]                      // 000000003110: BEA22300
	s_cbranch_execz 69                                         // 000000003114: BF880045 <_ZN5aiter10DecodeTopKL19topk_per_row_decodeILi1024ELb0ELi4EEEvPKfPKiPiiii+0x162c>
	v_cmp_eq_u32_e32 vcc, 3, v23                               // 000000003118: 7D942E83
	s_nop 1                                                    // 00000000311C: BF800001
	v_cndmask_b32_e32 v3, v3, v10, vcc                         // 000000003120: 00061503
	v_cmp_eq_u32_e64 s[0:1], 2, v23                            // 000000003124: D0CA0000 00022E82
	s_nop 1                                                    // 00000000312C: BF800001
	v_cndmask_b32_e64 v2, v2, v10, s[0:1]                      // 000000003130: D1000002 00021502
	v_cmp_eq_u32_e64 s[4:5], 1, v23                            // 000000003138: D0CA0004 00022E81
	s_nop 1                                                    // 000000003140: BF800001
	v_cndmask_b32_e64 v1, v1, v10, s[4:5]                      // 000000003144: D1000001 00121501
	v_cmp_eq_u32_e64 s[14:15], 0, v23                          // 00000000314C: D0CA000E 00022E80
	s_nop 1                                                    // 000000003154: BF800001
	v_cndmask_b32_e64 v0, v0, v10, s[14:15]                    // 000000003158: D1000000 003A1500
	v_cndmask_b32_e32 v7, v7, v8, vcc                          // 000000003160: 000E1107
	v_cndmask_b32_e64 v6, v6, v8, s[0:1]                       // 000000003164: D1000006 00021106
	v_cndmask_b32_e64 v5, v5, v8, s[4:5]                       // 00000000316C: D1000005 00121105
	v_cndmask_b32_e64 v4, v4, v8, s[14:15]                     // 000000003174: D1000004 003A1104
	v_add_u32_e32 v8, 1, v23                                   // 00000000317C: 68102E81
	v_cmp_lt_i32_e32 vcc, 2, v23                               // 000000003180: 7D822E82
	s_and_saveexec_b64 s[0:1], vcc                             // 000000003184: BE80206A
	s_cbranch_execz 38                                         // 000000003188: BF880026 <_ZN5aiter10DecodeTopKL19topk_per_row_decodeILi1024ELb0ELi4EEEvPKfPKiPiiii+0x1624>
	s_mov_b64 s[14:15], exec                                   // 00000000318C: BE8E017E
	v_mbcnt_lo_u32_b32 v8, s14, 0                              // 000000003190: D28C0008 0001000E
	v_mbcnt_hi_u32_b32 v8, s15, v8                             // 000000003198: D28D0008 0002100F
	v_cmp_eq_u32_e32 vcc, 0, v8                                // 0000000031A0: 7D941080
	s_and_saveexec_b64 s[4:5], vcc                             // 0000000031A4: BE84206A
	s_cbranch_execz 5                                          // 0000000031A8: BF880005 <_ZN5aiter10DecodeTopKL19topk_per_row_decodeILi1024ELb0ELi4EEEvPKfPKiPiiii+0x15c0>
	s_bcnt1_i32_b64 s14, s[14:15]                              // 0000000031AC: BE8E0D0E
	s_lshl_b32 s14, s14, 2                                     // 0000000031B0: 8E0E820E
	v_mov_b32_e32 v9, s14                                      // 0000000031B4: 7E12020E
	ds_add_rtn_u32 v9, v15, v9 offset:33088                    // 0000000031B8: D8408140 0900090F
	s_or_b64 exec, exec, s[4:5]                                // 0000000031C0: 87FE047E
	s_waitcnt lgkmcnt(0)                                       // 0000000031C4: BF8CC07F
	v_readfirstlane_b32 s4, v9                                 // 0000000031C8: 7E080509
	s_nop 1                                                    // 0000000031CC: BF800001
	v_lshl_add_u32 v8, v8, 2, s4                               // 0000000031D0: D1FD0008 00110508
	v_add_u32_e32 v9, 4, v8                                    // 0000000031D8: 68121084
	v_cmp_le_i32_e32 vcc, v9, v18                              // 0000000031DC: 7D862509
	s_and_saveexec_b64 s[4:5], vcc                             // 0000000031E0: BE84206A
	s_cbranch_execz 13                                         // 0000000031E4: BF88000D <_ZN5aiter10DecodeTopKL19topk_per_row_decodeILi1024ELb0ELi4EEEvPKfPKiPiiii+0x161c>
	v_lshlrev_b32_e32 v8, 2, v8                                // 0000000031E8: 24101082
	v_add_u32_e32 v9, 0x2010, v8                               // 0000000031EC: 681210FF 00002010
	v_add_u32_e32 v10, 0x2018, v8                              // 0000000031F4: 681410FF 00002018
	ds_write2_b32 v10, v2, v3 offset1:1                        // 0000000031FC: D81C0100 0003020A
	ds_write2_b32 v9, v0, v1 offset1:1                         // 000000003204: D81C0100 00010009
	ds_write2_b32 v8, v6, v7 offset0:2 offset1:3               // 00000000320C: D81C0302 00070608
	ds_write2_b32 v8, v4, v5 offset1:1                         // 000000003214: D81C0100 00050408
	s_or_b64 exec, exec, s[4:5]                                // 00000000321C: 87FE047E
	v_mov_b32_e32 v8, 0                                        // 000000003220: 7E100280
	s_or_b64 exec, exec, s[0:1]                                // 000000003224: 87FE007E
	v_mov_b32_e32 v23, v8                                      // 000000003228: 7E2E0308
	s_or_b64 exec, exec, s[34:35]                              // 00000000322C: 87FE227E
	s_or_b64 exec, exec, s[24:25]                              // 000000003230: 87FE187E
	v_cvt_f16_f32_e32 v8, v11                                  // 000000003234: 7E10150B
	v_xor_b32_e32 v9, -1, v8                                   // 000000003238: 2A1210C1
	v_and_b32_e32 v9, 0x7fe0, v9                               // 00000000323C: 261212FF 00007FE0
	v_cmp_gt_i16_e32 vcc, 0, v8                                // 000000003244: 7D481080
	s_nop 1                                                    // 000000003248: BF800001
	v_cndmask_b32_e32 v8, v9, v8, vcc                          // 00000000324C: 00101109
	v_lshrrev_b16_e32 v9, 5, v8                                // 000000003250: 56121085
	v_cmp_ge_u32_e32 vcc, v19, v9                              // 000000003254: 7D9C1313
	s_and_saveexec_b64 s[24:25], vcc                           // 000000003258: BE98206A
	s_cbranch_execz 65224                                      // 00000000325C: BF88FEC8 <_ZN5aiter10DecodeTopKL19topk_per_row_decodeILi1024ELb0ELi4EEEvPKfPKiPiiii+0x1180>
	v_add_u32_e32 v8, 3, v24                                   // 000000003260: 68103083
	v_cmp_ne_u32_e32 vcc, v19, v9                              // 000000003264: 7D9A1313
	s_and_saveexec_b64 s[0:1], vcc                             // 000000003268: BE80206A
	s_xor_b64 s[0:1], exec, s[0:1]                             // 00000000326C: 8880007E
	s_cbranch_execz 7                                          // 000000003270: BF880007 <_ZN5aiter10DecodeTopKL19topk_per_row_decodeILi1024ELb0ELi4EEEvPKfPKiPiiii+0x1690>
	v_lshlrev_b32_e32 v9, 2, v9                                // 000000003274: 24121282
	ds_add_rtn_u32 v9, v9, v25 offset:24640                    // 000000003278: D8406040 09001909
	s_waitcnt lgkmcnt(0)                                       // 000000003280: BF8CC07F
	v_lshlrev_b32_e32 v9, 2, v9                                // 000000003284: 24121282
	ds_write_b32 v9, v8 offset:16448                           // 000000003288: D81A4040 00000809
	s_andn2_saveexec_b64 s[34:35], s[0:1]                      // 000000003290: BEA22300
	s_cbranch_execz 65209                                      // 000000003294: BF88FEB9 <_ZN5aiter10DecodeTopKL19topk_per_row_decodeILi1024ELb0ELi4EEEvPKfPKiPiiii+0x117c>
	v_cmp_eq_u32_e32 vcc, 3, v23                               // 000000003298: 7D942E83
	s_nop 1                                                    // 00000000329C: BF800001
	v_cndmask_b32_e32 v3, v3, v11, vcc                         // 0000000032A0: 00061703
	v_cmp_eq_u32_e64 s[0:1], 2, v23                            // 0000000032A4: D0CA0000 00022E82
	s_nop 1                                                    // 0000000032AC: BF800001
	v_cndmask_b32_e64 v2, v2, v11, s[0:1]                      // 0000000032B0: D1000002 00021702
	v_cmp_eq_u32_e64 s[4:5], 1, v23                            // 0000000032B8: D0CA0004 00022E81
	s_nop 1                                                    // 0000000032C0: BF800001
	v_cndmask_b32_e64 v1, v1, v11, s[4:5]                      // 0000000032C4: D1000001 00121701
	v_cmp_eq_u32_e64 s[14:15], 0, v23                          // 0000000032CC: D0CA000E 00022E80
	s_nop 1                                                    // 0000000032D4: BF800001
	v_cndmask_b32_e64 v0, v0, v11, s[14:15]                    // 0000000032D8: D1000000 003A1700
	v_cndmask_b32_e32 v7, v7, v8, vcc                          // 0000000032E0: 000E1107
	v_cndmask_b32_e64 v6, v6, v8, s[0:1]                       // 0000000032E4: D1000006 00021106
	v_cndmask_b32_e64 v5, v5, v8, s[4:5]                       // 0000000032EC: D1000005 00121105
	v_cndmask_b32_e64 v4, v4, v8, s[14:15]                     // 0000000032F4: D1000004 003A1104
	v_add_u32_e32 v8, 1, v23                                   // 0000000032FC: 68102E81
	v_cmp_lt_i32_e32 vcc, 2, v23                               // 000000003300: 7D822E82
	s_and_saveexec_b64 s[0:1], vcc                             // 000000003304: BE80206A
	s_cbranch_execz 65178                                      // 000000003308: BF88FE9A <_ZN5aiter10DecodeTopKL19topk_per_row_decodeILi1024ELb0ELi4EEEvPKfPKiPiiii+0x1174>
	s_mov_b64 s[14:15], exec                                   // 00000000330C: BE8E017E
	v_mbcnt_lo_u32_b32 v8, s14, 0                              // 000000003310: D28C0008 0001000E
	v_mbcnt_hi_u32_b32 v8, s15, v8                             // 000000003318: D28D0008 0002100F
	v_cmp_eq_u32_e32 vcc, 0, v8                                // 000000003320: 7D941080
	s_and_saveexec_b64 s[4:5], vcc                             // 000000003324: BE84206A
	s_cbranch_execz 5                                          // 000000003328: BF880005 <_ZN5aiter10DecodeTopKL19topk_per_row_decodeILi1024ELb0ELi4EEEvPKfPKiPiiii+0x1740>
	s_bcnt1_i32_b64 s14, s[14:15]                              // 00000000332C: BE8E0D0E
	s_lshl_b32 s14, s14, 2                                     // 000000003330: 8E0E820E
	v_mov_b32_e32 v9, s14                                      // 000000003334: 7E12020E
	ds_add_rtn_u32 v9, v15, v9 offset:33088                    // 000000003338: D8408140 0900090F
	s_or_b64 exec, exec, s[4:5]                                // 000000003340: 87FE047E
	s_waitcnt lgkmcnt(0)                                       // 000000003344: BF8CC07F
	v_readfirstlane_b32 s4, v9                                 // 000000003348: 7E080509
	s_nop 1                                                    // 00000000334C: BF800001
	v_lshl_add_u32 v8, v8, 2, s4                               // 000000003350: D1FD0008 00110508
	v_add_u32_e32 v9, 4, v8                                    // 000000003358: 68121084
	v_cmp_le_i32_e32 vcc, v9, v18                              // 00000000335C: 7D862509
	s_and_saveexec_b64 s[4:5], vcc                             // 000000003360: BE84206A
	s_cbranch_execz 65153                                      // 000000003364: BF88FE81 <_ZN5aiter10DecodeTopKL19topk_per_row_decodeILi1024ELb0ELi4EEEvPKfPKiPiiii+0x116c>
	v_lshlrev_b32_e32 v8, 2, v8                                // 000000003368: 24101082
	v_add_u32_e32 v9, 0x2010, v8                               // 00000000336C: 681210FF 00002010
	v_add_u32_e32 v10, 0x2018, v8                              // 000000003374: 681410FF 00002018
	ds_write2_b32 v10, v2, v3 offset1:1                        // 00000000337C: D81C0100 0003020A
	ds_write2_b32 v9, v0, v1 offset1:1                         // 000000003384: D81C0100 00010009
	ds_write2_b32 v8, v6, v7 offset0:2 offset1:3               // 00000000338C: D81C0302 00070608
	ds_write2_b32 v8, v4, v5 offset1:1                         // 000000003394: D81C0100 00050408
	s_branch 65139                                             // 00000000339C: BF82FE73 <_ZN5aiter10DecodeTopKL19topk_per_row_decodeILi1024ELb0ELi4EEEvPKfPKiPiiii+0x116c>
	s_or_b64 exec, exec, s[18:19]                              // 0000000033A0: 87FE127E
	s_and_saveexec_b64 s[14:15], s[6:7]                        // 0000000033A4: BE8E2006
	s_cbranch_execz 108                                        // 0000000033A8: BF88006C <_ZN5aiter10DecodeTopKL19topk_per_row_decodeILi1024ELb0ELi4EEEvPKfPKiPiiii+0x195c>
	global_load_dword v8, v13, s[26:27]                        // 0000000033AC: DC508000 081A000D
	s_waitcnt vmcnt(0)                                         // 0000000033B4: BF8C0F70
	v_cvt_f16_f32_e32 v9, v8                                   // 0000000033B8: 7E121508
	v_xor_b32_e32 v10, -1, v9                                  // 0000000033BC: 2A1412C1
	v_and_b32_e32 v10, 0x7fe0, v10                             // 0000000033C0: 261414FF 00007FE0
	v_cmp_gt_i16_e32 vcc, 0, v9                                // 0000000033C8: 7D481280
	s_nop 1                                                    // 0000000033CC: BF800001
	v_cndmask_b32_e32 v9, v10, v9, vcc                         // 0000000033D0: 0012130A
	v_lshrrev_b16_e32 v9, 5, v9                                // 0000000033D4: 56121285
	v_cmp_ge_u32_e32 vcc, v19, v9                              // 0000000033D8: 7D9C1313
	s_and_saveexec_b64 s[18:19], vcc                           // 0000000033DC: BE92206A
	s_cbranch_execz 85                                         // 0000000033E0: BF880055 <_ZN5aiter10DecodeTopKL19topk_per_row_decodeILi1024ELb0ELi4EEEvPKfPKiPiiii+0x1938>
	v_cmp_ne_u32_e32 vcc, v19, v9                              // 0000000033E4: 7D9A1313
	s_and_saveexec_b64 s[0:1], vcc                             // 0000000033E8: BE80206A
	s_xor_b64 s[0:1], exec, s[0:1]                             // 0000000033EC: 8880007E
	s_cbranch_execz 8                                          // 0000000033F0: BF880008 <_ZN5aiter10DecodeTopKL19topk_per_row_decodeILi1024ELb0ELi4EEEvPKfPKiPiiii+0x1814>
	v_lshlrev_b32_e32 v8, 2, v9                                // 0000000033F4: 24101282
	v_mov_b32_e32 v9, 1                                        // 0000000033F8: 7E120281
	ds_add_rtn_u32 v8, v8, v9 offset:24640                     // 0000000033FC: D8406040 08000908
	s_waitcnt lgkmcnt(0)                                       // 000000003404: BF8CC07F
	v_lshlrev_b32_e32 v8, 2, v8                                // 000000003408: 24101082
	ds_write_b32 v8, v12 offset:16448                          // 00000000340C: D81A4040 00000C08
	s_andn2_saveexec_b64 s[20:21], s[0:1]                      // 000000003414: BE942300
	s_cbranch_execz 70                                         // 000000003418: BF880046 <_ZN5aiter10DecodeTopKL19topk_per_row_decodeILi1024ELb0ELi4EEEvPKfPKiPiiii+0x1934>
	v_cmp_eq_u32_e32 vcc, 3, v23                               // 00000000341C: 7D942E83
	s_nop 1                                                    // 000000003420: BF800001
	v_cndmask_b32_e32 v3, v3, v8, vcc                          // 000000003424: 00061103
	v_cmp_eq_u32_e64 s[0:1], 2, v23                            // 000000003428: D0CA0000 00022E82
	s_nop 1                                                    // 000000003430: BF800001
	v_cndmask_b32_e64 v2, v2, v8, s[0:1]                       // 000000003434: D1000002 00021102
	v_cmp_eq_u32_e64 s[4:5], 1, v23                            // 00000000343C: D0CA0004 00022E81
	s_nop 1                                                    // 000000003444: BF800001
	v_cndmask_b32_e64 v1, v1, v8, s[4:5]                       // 000000003448: D1000001 00121101
	v_cmp_eq_u32_e64 s[6:7], 0, v23                            // 000000003450: D0CA0006 00022E80
	s_nop 1                                                    // 000000003458: BF800001
	v_cndmask_b32_e64 v0, v0, v8, s[6:7]                       // 00000000345C: D1000000 001A1100
	v_cndmask_b32_e32 v7, v7, v12, vcc                         // 000000003464: 000E1907
	v_cndmask_b32_e64 v6, v6, v12, s[0:1]                      // 000000003468: D1000006 00021906
	v_cndmask_b32_e64 v5, v5, v12, s[4:5]                      // 000000003470: D1000005 00121905
	v_cndmask_b32_e64 v4, v4, v12, s[6:7]                      // 000000003478: D1000004 001A1904
	v_add_u32_e32 v8, 1, v23                                   // 000000003480: 68102E81
	v_cmp_lt_i32_e32 vcc, 2, v23                               // 000000003484: 7D822E82
	s_and_saveexec_b64 s[0:1], vcc                             // 000000003488: BE80206A
	s_cbranch_execz 39                                         // 00000000348C: BF880027 <_ZN5aiter10DecodeTopKL19topk_per_row_decodeILi1024ELb0ELi4EEEvPKfPKiPiiii+0x192c>
	s_mov_b64 s[6:7], exec                                     // 000000003490: BE86017E
	v_mbcnt_lo_u32_b32 v8, s6, 0                               // 000000003494: D28C0008 00010006
	v_mbcnt_hi_u32_b32 v8, s7, v8                              // 00000000349C: D28D0008 00021007
	v_cmp_eq_u32_e32 vcc, 0, v8                                // 0000000034A4: 7D941080
	s_and_saveexec_b64 s[4:5], vcc                             // 0000000034A8: BE84206A
	s_cbranch_execz 6                                          // 0000000034AC: BF880006 <_ZN5aiter10DecodeTopKL19topk_per_row_decodeILi1024ELb0ELi4EEEvPKfPKiPiiii+0x18c8>
	s_bcnt1_i32_b64 s6, s[6:7]                                 // 0000000034B0: BE860D06
	s_lshl_b32 s6, s6, 2                                       // 0000000034B4: 8E068206
	v_mov_b32_e32 v9, 0                                        // 0000000034B8: 7E120280
	v_mov_b32_e32 v10, s6                                      // 0000000034BC: 7E140206
	ds_add_rtn_u32 v9, v9, v10 offset:33088                    // 0000000034C0: D8408140 09000A09
	s_or_b64 exec, exec, s[4:5]                                // 0000000034C8: 87FE047E
	s_waitcnt lgkmcnt(0)                                       // 0000000034CC: BF8CC07F
	v_readfirstlane_b32 s4, v9                                 // 0000000034D0: 7E080509
	s_nop 1                                                    // 0000000034D4: BF800001
	v_lshl_add_u32 v8, v8, 2, s4                               // 0000000034D8: D1FD0008 00110508
	v_add_u32_e32 v9, 4, v8                                    // 0000000034E0: 68121084
	v_cmp_le_i32_e32 vcc, v9, v18                              // 0000000034E4: 7D862509
	s_and_saveexec_b64 s[4:5], vcc                             // 0000000034E8: BE84206A
	s_cbranch_execz 13                                         // 0000000034EC: BF88000D <_ZN5aiter10DecodeTopKL19topk_per_row_decodeILi1024ELb0ELi4EEEvPKfPKiPiiii+0x1924>
	v_lshlrev_b32_e32 v8, 2, v8                                // 0000000034F0: 24101082
	v_add_u32_e32 v9, 0x2010, v8                               // 0000000034F4: 681210FF 00002010
	v_add_u32_e32 v10, 0x2018, v8                              // 0000000034FC: 681410FF 00002018
	ds_write2_b32 v10, v2, v3 offset1:1                        // 000000003504: D81C0100 0003020A
	ds_write2_b32 v9, v0, v1 offset1:1                         // 00000000350C: D81C0100 00010009
	ds_write2_b32 v8, v6, v7 offset0:2 offset1:3               // 000000003514: D81C0302 00070608
	ds_write2_b32 v8, v4, v5 offset1:1                         // 00000000351C: D81C0100 00050408
	s_or_b64 exec, exec, s[4:5]                                // 000000003524: 87FE047E
	v_mov_b32_e32 v8, 0                                        // 000000003528: 7E100280
	s_or_b64 exec, exec, s[0:1]                                // 00000000352C: 87FE007E
	v_mov_b32_e32 v23, v8                                      // 000000003530: 7E2E0308
	s_or_b64 exec, exec, s[20:21]                              // 000000003534: 87FE147E
	s_or_b64 exec, exec, s[18:19]                              // 000000003538: 87FE127E
	s_or_b64 exec, exec, s[14:15]                              // 00000000353C: 87FE0E7E
	s_and_saveexec_b64 s[14:15], s[10:11]                      // 000000003540: BE8E200A
	s_cbranch_execz 110                                        // 000000003544: BF88006E <_ZN5aiter10DecodeTopKL19topk_per_row_decodeILi1024ELb0ELi4EEEvPKfPKiPiiii+0x1b00>
	s_branch 7                                                 // 000000003548: BF820007 <_ZN5aiter10DecodeTopKL19topk_per_row_decodeILi1024ELb0ELi4EEEvPKfPKiPiiii+0x1968>
	s_or_b64 exec, exec, s[20:21]                              // 00000000354C: 87FE147E
	s_or_b64 exec, exec, s[18:19]                              // 000000003550: 87FE127E
	s_and_saveexec_b64 s[14:15], s[6:7]                        // 000000003554: BE8E2006
	s_cbranch_execnz 65428                                     // 000000003558: BF89FF94 <_ZN5aiter10DecodeTopKL19topk_per_row_decodeILi1024ELb0ELi4EEEvPKfPKiPiiii+0x17ac>
	s_or_b64 exec, exec, s[14:15]                              // 00000000355C: 87FE0E7E
	s_and_saveexec_b64 s[14:15], s[10:11]                      // 000000003560: BE8E200A
	s_cbranch_execz 102                                        // 000000003564: BF880066 <_ZN5aiter10DecodeTopKL19topk_per_row_decodeILi1024ELb0ELi4EEEvPKfPKiPiiii+0x1b00>
	v_lshl_add_u64 v[8:9], v[16:17], 2, s[26:27]               // 000000003568: D2080008 00690510
	global_load_dword v8, v[8:9], off                          // 000000003570: DC508000 087F0008
	s_waitcnt vmcnt(0)                                         // 000000003578: BF8C0F70
	v_cvt_f16_f32_e32 v9, v8                                   // 00000000357C: 7E121508
	v_xor_b32_e32 v10, -1, v9                                  // 000000003580: 2A1412C1
	v_and_b32_e32 v10, 0x7fe0, v10                             // 000000003584: 261414FF 00007FE0
	v_cmp_gt_i16_e32 vcc, 0, v9                                // 00000000358C: 7D481280
	s_nop 1                                                    // 000000003590: BF800001
	v_cndmask_b32_e32 v9, v10, v9, vcc                         // 000000003594: 0012130A
	v_lshrrev_b16_e32 v9, 5, v9                                // 000000003598: 56121285
	v_cmp_ge_u32_e32 vcc, v19, v9                              // 00000000359C: 7D9C1313
	s_and_saveexec_b64 s[10:11], vcc                           // 0000000035A0: BE8A206A
	s_cbranch_execz 85                                         // 0000000035A4: BF880055 <_ZN5aiter10DecodeTopKL19topk_per_row_decodeILi1024ELb0ELi4EEEvPKfPKiPiiii+0x1afc>
	v_cmp_ne_u32_e32 vcc, v19, v9                              // 0000000035A8: 7D9A1313
	s_and_saveexec_b64 s[0:1], vcc                             // 0000000035AC: BE80206A
	s_xor_b64 s[0:1], exec, s[0:1]                             // 0000000035B0: 8880007E
	s_cbranch_execz 8                                          // 0000000035B4: BF880008 <_ZN5aiter10DecodeTopKL19topk_per_row_decodeILi1024ELb0ELi4EEEvPKfPKiPiiii+0x19d8>
	v_lshlrev_b32_e32 v8, 2, v9                                // 0000000035B8: 24101282
	v_mov_b32_e32 v9, 1                                        // 0000000035BC: 7E120281
	ds_add_rtn_u32 v8, v8, v9 offset:24640                     // 0000000035C0: D8406040 08000908
	s_waitcnt lgkmcnt(0)                                       // 0000000035C8: BF8CC07F
	v_lshlrev_b32_e32 v8, 2, v8                                // 0000000035CC: 24101082
	ds_write_b32 v8, v16 offset:16448                          // 0000000035D0: D81A4040 00001008
	s_andn2_saveexec_b64 s[18:19], s[0:1]                      // 0000000035D8: BE922300
	s_cbranch_execz 70                                         // 0000000035DC: BF880046 <_ZN5aiter10DecodeTopKL19topk_per_row_decodeILi1024ELb0ELi4EEEvPKfPKiPiiii+0x1af8>
	v_cmp_eq_u32_e32 vcc, 3, v23                               // 0000000035E0: 7D942E83
	s_nop 1                                                    // 0000000035E4: BF800001
	v_cndmask_b32_e32 v3, v3, v8, vcc                          // 0000000035E8: 00061103
	v_cmp_eq_u32_e64 s[0:1], 2, v23                            // 0000000035EC: D0CA0000 00022E82
	s_nop 1                                                    // 0000000035F4: BF800001
	v_cndmask_b32_e64 v2, v2, v8, s[0:1]                       // 0000000035F8: D1000002 00021102
	v_cmp_eq_u32_e64 s[4:5], 1, v23                            // 000000003600: D0CA0004 00022E81
	s_nop 1                                                    // 000000003608: BF800001
	v_cndmask_b32_e64 v1, v1, v8, s[4:5]                       // 00000000360C: D1000001 00121101
	v_cmp_eq_u32_e64 s[6:7], 0, v23                            // 000000003614: D0CA0006 00022E80
	s_nop 1                                                    // 00000000361C: BF800001
	v_cndmask_b32_e64 v0, v0, v8, s[6:7]                       // 000000003620: D1000000 001A1100
	v_cndmask_b32_e32 v7, v7, v16, vcc                         // 000000003628: 000E2107
	v_cndmask_b32_e64 v6, v6, v16, s[0:1]                      // 00000000362C: D1000006 00022106
	v_cndmask_b32_e64 v5, v5, v16, s[4:5]                      // 000000003634: D1000005 00122105
	v_cndmask_b32_e64 v4, v4, v16, s[6:7]                      // 00000000363C: D1000004 001A2104
	v_add_u32_e32 v8, 1, v23                                   // 000000003644: 68102E81
	v_cmp_lt_i32_e32 vcc, 2, v23                               // 000000003648: 7D822E82
	s_and_saveexec_b64 s[0:1], vcc                             // 00000000364C: BE80206A
	s_cbranch_execz 39                                         // 000000003650: BF880027 <_ZN5aiter10DecodeTopKL19topk_per_row_decodeILi1024ELb0ELi4EEEvPKfPKiPiiii+0x1af0>
	s_mov_b64 s[6:7], exec                                     // 000000003654: BE86017E
	v_mbcnt_lo_u32_b32 v8, s6, 0                               // 000000003658: D28C0008 00010006
	v_mbcnt_hi_u32_b32 v8, s7, v8                              // 000000003660: D28D0008 00021007
	v_cmp_eq_u32_e32 vcc, 0, v8                                // 000000003668: 7D941080
	s_and_saveexec_b64 s[4:5], vcc                             // 00000000366C: BE84206A
	s_cbranch_execz 6                                          // 000000003670: BF880006 <_ZN5aiter10DecodeTopKL19topk_per_row_decodeILi1024ELb0ELi4EEEvPKfPKiPiiii+0x1a8c>
	s_bcnt1_i32_b64 s6, s[6:7]                                 // 000000003674: BE860D06
	s_lshl_b32 s6, s6, 2                                       // 000000003678: 8E068206
	v_mov_b32_e32 v9, 0                                        // 00000000367C: 7E120280
	v_mov_b32_e32 v10, s6                                      // 000000003680: 7E140206
	ds_add_rtn_u32 v9, v9, v10 offset:33088                    // 000000003684: D8408140 09000A09
	s_or_b64 exec, exec, s[4:5]                                // 00000000368C: 87FE047E
	s_waitcnt lgkmcnt(0)                                       // 000000003690: BF8CC07F
	v_readfirstlane_b32 s4, v9                                 // 000000003694: 7E080509
	s_nop 1                                                    // 000000003698: BF800001
	v_lshl_add_u32 v8, v8, 2, s4                               // 00000000369C: D1FD0008 00110508
	v_add_u32_e32 v9, 4, v8                                    // 0000000036A4: 68121084
	v_cmp_le_i32_e32 vcc, v9, v18                              // 0000000036A8: 7D862509
	s_and_saveexec_b64 s[4:5], vcc                             // 0000000036AC: BE84206A
	s_cbranch_execz 13                                         // 0000000036B0: BF88000D <_ZN5aiter10DecodeTopKL19topk_per_row_decodeILi1024ELb0ELi4EEEvPKfPKiPiiii+0x1ae8>
	v_lshlrev_b32_e32 v8, 2, v8                                // 0000000036B4: 24101082
	v_add_u32_e32 v9, 0x2010, v8                               // 0000000036B8: 681210FF 00002010
	v_add_u32_e32 v10, 0x2018, v8                              // 0000000036C0: 681410FF 00002018
	ds_write2_b32 v10, v2, v3 offset1:1                        // 0000000036C8: D81C0100 0003020A
	ds_write2_b32 v9, v0, v1 offset1:1                         // 0000000036D0: D81C0100 00010009
	ds_write2_b32 v8, v6, v7 offset0:2 offset1:3               // 0000000036D8: D81C0302 00070608
	ds_write2_b32 v8, v4, v5 offset1:1                         // 0000000036E0: D81C0100 00050408
	s_or_b64 exec, exec, s[4:5]                                // 0000000036E8: 87FE047E
	v_mov_b32_e32 v8, 0                                        // 0000000036EC: 7E100280
	s_or_b64 exec, exec, s[0:1]                                // 0000000036F0: 87FE007E
	v_mov_b32_e32 v23, v8                                      // 0000000036F4: 7E2E0308
	s_or_b64 exec, exec, s[18:19]                              // 0000000036F8: 87FE127E
	s_or_b64 exec, exec, s[10:11]                              // 0000000036FC: 87FE0A7E
	s_or_b64 exec, exec, s[14:15]                              // 000000003700: 87FE0E7E
	s_mov_b32 s6, 0                                            // 000000003704: BE860080
	v_cmp_lt_i32_e32 vcc, 0, v23                               // 000000003708: 7D822E80
	s_and_saveexec_b64 s[4:5], vcc                             // 00000000370C: BE84206A
	s_cbranch_execz 61                                         // 000000003710: BF88003D <_ZN5aiter10DecodeTopKL19topk_per_row_decodeILi1024ELb0ELi4EEEvPKfPKiPiiii+0x1c08>
	s_mov_b64 s[0:1], exec                                     // 000000003714: BE80017E
	s_ff1_i32_b64 s7, s[0:1]                                   // 000000003718: BE871100
	s_mov_b32 m0, s7                                           // 00000000371C: BEFC0007
	v_readlane_b32 s14, v23, s7                                // 000000003720: D289000E 00000F17
	s_lshl_b64 s[10:11], 1, s7                                 // 000000003728: 8E8A0781
	v_writelane_b32 v8, s6, m0                                 // 00000000372C: D28A0008 0000F806
	s_add_i32 s6, s6, s14                                      // 000000003734: 81060E06
	s_andn2_b64 s[0:1], s[0:1], s[10:11]                       // 000000003738: 89800A00
	s_cmp_lg_u64 s[0:1], 0                                     // 00000000373C: BF138000
	s_cbranch_scc1 65525                                       // 000000003740: BF85FFF5 <_ZN5aiter10DecodeTopKL19topk_per_row_decodeILi1024ELb0ELi4EEEvPKfPKiPiiii+0x1b18>
	v_mbcnt_lo_u32_b32 v9, exec_lo, 0                          // 000000003744: D28C0009 0001007E
	v_mbcnt_hi_u32_b32 v9, exec_hi, v9                         // 00000000374C: D28D0009 0002127F
	v_cmp_eq_u32_e32 vcc, 0, v9                                // 000000003754: 7D941280
	s_and_saveexec_b64 s[0:1], vcc                             // 000000003758: BE80206A
	s_xor_b64 s[0:1], exec, s[0:1]                             // 00000000375C: 8880007E
	s_cbranch_execz 4                                          // 000000003760: BF880004 <_ZN5aiter10DecodeTopKL19topk_per_row_decodeILi1024ELb0ELi4EEEvPKfPKiPiiii+0x1b74>
	v_mov_b32_e32 v9, 0                                        // 000000003764: 7E120280
	v_mov_b32_e32 v10, s6                                      // 000000003768: 7E140206
	ds_add_rtn_u32 v9, v9, v10 offset:33088                    // 00000000376C: D8408140 09000A09
	s_or_b64 exec, exec, s[0:1]                                // 000000003774: 87FE007E
	s_waitcnt lgkmcnt(0)                                       // 000000003778: BF8CC07F
	v_readfirstlane_b32 s0, v9                                 // 00000000377C: 7E000509
	s_nop 1                                                    // 000000003780: BF800001
	v_add_u32_e32 v8, s0, v8                                   // 000000003784: 68101000
	v_add_u32_e32 v9, v8, v23                                  // 000000003788: 68122F08
	v_cmp_le_i32_e32 vcc, v9, v18                              // 00000000378C: 7D862509
	s_and_b64 exec, exec, vcc                                  // 000000003790: 86FE6A7E
	s_cbranch_execz 28                                         // 000000003794: BF88001C <_ZN5aiter10DecodeTopKL19topk_per_row_decodeILi1024ELb0ELi4EEEvPKfPKiPiiii+0x1c08>
	v_lshlrev_b32_e32 v8, 2, v8                                // 000000003798: 24101082
	s_mov_b64 s[6:7], 0                                        // 00000000379C: BE860180
	s_mov_b64 s[10:11], 0                                      // 0000000037A0: BE8A0180
	s_cmp_eq_u32 s10, 1                                        // 0000000037A4: BF06810A
	s_cselect_b64 vcc, -1, 0                                   // 0000000037A8: 85EA80C1
	v_cndmask_b32_e32 v9, v0, v1, vcc                          // 0000000037AC: 00120300
	s_cmp_eq_u32 s10, 2                                        // 0000000037B0: BF06820A
	s_cselect_b64 s[0:1], -1, 0                                // 0000000037B4: 858080C1
	v_cndmask_b32_e64 v9, v9, v2, s[0:1]                       // 0000000037B8: D1000009 00020509
	s_cmp_eq_u32 s10, 3                                        // 0000000037C0: BF06830A
	v_cndmask_b32_e32 v10, v4, v5, vcc                         // 0000000037C4: 00140B04
	s_cselect_b64 vcc, -1, 0                                   // 0000000037C8: 85EA80C1
	v_cndmask_b32_e32 v9, v9, v3, vcc                          // 0000000037CC: 00120709
	v_cndmask_b32_e64 v10, v10, v6, s[0:1]                     // 0000000037D0: D100000A 00020D0A
	s_add_u32 s10, s10, 1                                      // 0000000037D8: 800A810A
	ds_write_b32 v8, v9 offset:8208                            // 0000000037DC: D81A2010 00000908
	v_cndmask_b32_e32 v9, v10, v7, vcc                         // 0000000037E4: 00120F0A
	s_addc_u32 s11, s11, 0                                     // 0000000037E8: 820B800B
	v_cmp_eq_u32_e32 vcc, s10, v23                             // 0000000037EC: 7D942E0A
	ds_write_b32 v8, v9                                        // 0000000037F0: D81A0000 00000908
	s_or_b64 s[6:7], vcc, s[6:7]                               // 0000000037F8: 8786066A
	v_add_u32_e32 v8, 4, v8                                    // 0000000037FC: 68101084
	s_andn2_b64 exec, exec, s[6:7]                             // 000000003800: 89FE067E
	s_cbranch_execnz 65511                                     // 000000003804: BF89FFE7 <_ZN5aiter10DecodeTopKL19topk_per_row_decodeILi1024ELb0ELi4EEEvPKfPKiPiiii+0x1ba4>
	s_or_b64 exec, exec, s[4:5]                                // 000000003808: 87FE047E
	s_waitcnt lgkmcnt(0)                                       // 00000000380C: BF8CC07F
	s_barrier                                                  // 000000003810: BF8A0000
	v_mov_b32_e32 v0, 0                                        // 000000003814: 7E000280
	ds_read_b32 v10, v0 offset:33096                           // 000000003818: D86C8148 0A000000
	s_waitcnt lgkmcnt(0)                                       // 000000003820: BF8CC07F
	v_readfirstlane_b32 s0, v10                                // 000000003824: 7E00050A
	s_ashr_i32 s1, s0, 31                                      // 000000003828: 90019F00
	s_lshr_b32 s1, s1, 30                                      // 00000000382C: 8F019E01
	s_add_i32 s0, s0, s1                                       // 000000003830: 81000100
	s_ashr_i32 s36, s0, 2                                      // 000000003834: 90248200
	v_cmp_gt_u32_e32 vcc, s36, v12                             // 000000003838: 7D981824
	s_and_saveexec_b64 s[0:1], vcc                             // 00000000383C: BE80206A
	s_cbranch_execz 12                                         // 000000003840: BF88000C <_ZN5aiter10DecodeTopKL19topk_per_row_decodeILi1024ELb0ELi4EEEvPKfPKiPiiii+0x1c74>
	ds_read_b128 v[0:3], v14 offset:16448                      // 000000003844: D9FE4040 0000000E
	s_waitcnt lgkmcnt(0)                                       // 00000000384C: BF8CC07F
	global_store_dwordx4 v14, v[0:3], s[30:31]                 // 000000003850: DC7C8000 001E000E
	s_or_b64 exec, exec, s[0:1]                                // 000000003858: 87FE007E
	s_cmpk_gt_i32 s38, 0x100                                   // 00000000385C: B2260100
	s_mov_b64 s[0:1], -1                                       // 000000003860: BE8001C1
	s_cbranch_scc1 7                                           // 000000003864: BF850007 <_ZN5aiter10DecodeTopKL19topk_per_row_decodeILi1024ELb0ELi4EEEvPKfPKiPiiii+0x1c84>
	s_andn2_b64 vcc, exec, s[0:1]                              // 000000003868: 89EA007E
	s_cbranch_vccnz 4347                                       // 00000000386C: BF8710FB <_ZN5aiter10DecodeTopKL19topk_per_row_decodeILi1024ELb0ELi4EEEvPKfPKiPiiii+0x605c>
	s_branch 2624                                              // 000000003870: BF820A40 <_ZN5aiter10DecodeTopKL19topk_per_row_decodeILi1024ELb0ELi4EEEvPKfPKiPiiii+0x4574>
	s_or_b64 exec, exec, s[0:1]                                // 000000003874: 87FE007E
	s_cmpk_gt_i32 s38, 0x100                                   // 000000003878: B2260100
	s_mov_b64 s[0:1], -1                                       // 00000000387C: BE8001C1
	s_cbranch_scc0 65529                                       // 000000003880: BF84FFF9 <_ZN5aiter10DecodeTopKL19topk_per_row_decodeILi1024ELb0ELi4EEEvPKfPKiPiiii+0x1c68>
	s_cmpk_lt_u32 s38, 0x201                                   // 000000003884: B6260201
	s_cbranch_scc1 523                                         // 000000003888: BF85020B <_ZN5aiter10DecodeTopKL19topk_per_row_decodeILi1024ELb0ELi4EEEvPKfPKiPiiii+0x24b8>
	v_cmp_gt_i32_e32 vcc, s38, v12                             // 00000000388C: 7D881826
	s_mov_b32 s0, 0xff7fffff                                   // 000000003890: BE8000FF FF7FFFFF
	s_mov_b32 s1, s0                                           // 000000003898: BE810000
	v_mov_b64_e32 v[2:3], s[0:1]                               // 00000000389C: 7E047000
	s_and_saveexec_b64 s[0:1], vcc                             // 0000000038A0: BE80206A
	s_cbranch_execz 6                                          // 0000000038A4: BF880006 <_ZN5aiter10DecodeTopKL19topk_per_row_decodeILi1024ELb0ELi4EEEvPKfPKiPiiii+0x1cc0>
	ds_read_b32 v2, v13 offset:8208                            // 0000000038A8: D86C2010 0200000D
	ds_read_b32 v0, v13                                        // 0000000038B0: D86C0000 0000000D
	v_mov_b32_e32 v3, 0xff7fffff                               // 0000000038B8: 7E0602FF FF7FFFFF
	s_or_b64 exec, exec, s[0:1]                                // 0000000038C0: 87FE007E
	s_min_i32 s0, s38, 0x800                                   // 0000000038C4: 8300FF26 00000800
	v_or_b32_e32 v4, 0x400, v12                                // 0000000038CC: 280818FF 00000400
	v_cmp_gt_i32_e32 vcc, s0, v4                               // 0000000038D4: 7D880800
	s_and_saveexec_b64 s[0:1], vcc                             // 0000000038D8: BE80206A
	s_cbranch_execz 4                                          // 0000000038DC: BF880004 <_ZN5aiter10DecodeTopKL19topk_per_row_decodeILi1024ELb0ELi4EEEvPKfPKiPiiii+0x1cf0>
	ds_read_b32 v3, v13 offset:12304                           // 0000000038E0: D86C3010 0300000D
	ds_read_b32 v1, v13 offset:4096                            // 0000000038E8: D86C1000 0100000D
	s_or_b64 exec, exec, s[0:1]                                // 0000000038F0: 87FE007E
	s_waitcnt lgkmcnt(0)                                       // 0000000038F4: BF8CC07F
	s_barrier                                                  // 0000000038F8: BF8A0000
	s_mov_b32 s34, 0                                           // 0000000038FC: BEA20080
	v_bfrev_b32_e32 v11, -2                                    // 000000003900: 7E1658C2
	v_cmp_gt_i32_e32 vcc, 0, v2                                // 000000003904: 7D880480
	s_nop 1                                                    // 000000003908: BF800001
	v_cndmask_b32_e64 v4, v11, 0, vcc                          // 00000000390C: D1000004 01A9010B
	v_xor_b32_e32 v2, v4, v2                                   // 000000003914: 2A040504
	v_cmp_gt_i32_e32 vcc, 0, v3                                // 000000003918: 7D880680
	s_nop 1                                                    // 00000000391C: BF800001
	v_cndmask_b32_e64 v4, v11, 0, vcc                          // 000000003920: D1000004 01A9010B
	v_xor_b32_e32 v3, v4, v3                                   // 000000003928: 2A060704
	v_mbcnt_lo_u32_b32 v4, -1, 0                               // 00000000392C: D28C0004 000100C1
	v_mbcnt_hi_u32_b32 v4, -1, v4                              // 000000003934: D28D0004 000208C1
	v_lshrrev_b32_e32 v5, 1, v4                                // 00000000393C: 200A0881
	v_and_b32_e32 v6, 1, v4                                    // 000000003940: 260C0881
	v_and_b32_e32 v7, 64, v4                                   // 000000003944: 260E08C0
	v_or_b32_e32 v5, v5, v7                                    // 000000003948: 280A0F05
	v_lshlrev_b32_e32 v5, 2, v5                                // 00000000394C: 240A0A82
	ds_bpermute_b32 v8, v5, v2                                 // 000000003950: D87E0000 08000205
	ds_bpermute_b32 v9, v5, v3                                 // 000000003958: D87E0000 09000305
	v_xor_b32_e32 v15, 0x80, v5                                // 000000003960: 2A1E0AFF 00000080
	ds_bpermute_b32 v2, v15, v2                                // 000000003968: D87E0000 0200020F
	ds_bpermute_b32 v3, v15, v3                                // 000000003970: D87E0000 0300030F
	ds_bpermute_b32 v16, v5, v0                                // 000000003978: D87E0000 10000005
	ds_bpermute_b32 v5, v5, v1                                 // 000000003980: D87E0000 05000105
	ds_bpermute_b32 v17, v15, v0                               // 000000003988: D87E0000 1100000F
	ds_bpermute_b32 v15, v15, v1                               // 000000003990: D87E0000 0F00010F
	v_cmp_eq_u32_e32 vcc, 0, v6                                // 000000003998: 7D940C80
	s_waitcnt lgkmcnt(6)                                       // 00000000399C: BF8CC67F
	s_nop 0                                                    // 0000000039A0: BF800000
	v_cndmask_b32_e32 v0, v9, v8, vcc                          // 0000000039A4: 00001109
	s_waitcnt lgkmcnt(4)                                       // 0000000039A8: BF8CC47F
	v_cndmask_b32_e32 v1, v3, v2, vcc                          // 0000000039AC: 00020503
	s_waitcnt lgkmcnt(2)                                       // 0000000039B0: BF8CC27F
	v_cndmask_b32_e32 v2, v5, v16, vcc                         // 0000000039B4: 00042105
	s_waitcnt lgkmcnt(0)                                       // 0000000039B8: BF8CC07F
	v_cndmask_b32_e32 v3, v15, v17, vcc                        // 0000000039BC: 0006230F
	s_barrier                                                  // 0000000039C0: BF8A0000
	v_and_b32_e32 v5, 15, v4                                   // 0000000039C4: 260A088F
	v_cmp_eq_u32_e64 s[0:1], 0, v5                             // 0000000039C8: D0CA0000 00020A80
	v_cmp_lt_u32_e64 s[4:5], 1, v5                             // 0000000039D0: D0C90004 00020A81
	v_cmp_lt_u32_e64 s[6:7], 3, v5                             // 0000000039D8: D0C90006 00020A83
	v_cmp_lt_u32_e64 s[10:11], 7, v5                           // 0000000039E0: D0C9000A 00020A87
	v_and_b32_e32 v5, 16, v4                                   // 0000000039E8: 260A0890
	v_cmp_eq_u32_e64 s[24:25], 0, v5                           // 0000000039EC: D0CA0018 00020A80
	v_cmp_lt_u32_e64 s[14:15], 31, v4                          // 0000000039F4: D0C9000E 0002089F
	v_and_b32_e32 v5, 63, v12                                  // 0000000039FC: 260A18BF
	v_cmp_eq_u32_e64 s[18:19], 63, v5                          // 000000003A00: D0CA0012 00020ABF
	v_cmp_gt_u32_e64 s[20:21], 16, v12                         // 000000003A08: D0CC0014 00021890
	v_add_u32_e32 v5, -1, v4                                   // 000000003A10: 680A08C1
	v_cmp_lt_i32_e32 vcc, v5, v7                               // 000000003A14: 7D820F05
	s_nop 1                                                    // 000000003A18: BF800001
	v_cndmask_b32_e32 v5, v5, v4, vcc                          // 000000003A1C: 000A0905
	v_lshlrev_b32_e32 v16, 2, v5                               // 000000003A20: 24200A82
	v_cmp_eq_u32_e64 s[22:23], 0, v4                           // 000000003A24: D0CA0016 00020880
	v_lshrrev_b32_e32 v5, 4, v12                               // 000000003A2C: 200A1884
	v_and_b32_e32 v17, 60, v5                                  // 000000003A30: 26220ABC
	v_mul_i32_i24_e32 v8, -12, v12                             // 000000003A34: 0C1018CC
	v_add_u32_e32 v18, -4, v17                                 // 000000003A38: 682422C4
	v_lshlrev_b32_e32 v5, 1, v12                               // 000000003A3C: 240A1881
	s_movk_i32 s26, 0x780                                      // 000000003A40: B01A0780
	v_and_or_b32 v4, v5, s26, v4                               // 000000003A44: D2010004 04103505
	v_lshlrev_b32_e32 v19, 2, v4                               // 000000003A4C: 24260882
	s_mov_b32 s35, s34                                         // 000000003A50: BEA30022
	s_mov_b32 s26, s34                                         // 000000003A54: BE9A0022
	s_mov_b32 s27, s34                                         // 000000003A58: BE9B0022
	v_mov_b64_e32 v[4:5], s[34:35]                             // 000000003A5C: 7E087022
	v_mov_b64_e32 v[6:7], s[26:27]                             // 000000003A60: 7E0C701A
	s_brev_b32 s35, 1                                          // 000000003A64: BEA30881
	v_mov_b32_e32 v9, 0                                        // 000000003A68: 7E120280
	v_add_u32_e32 v15, v14, v8                                 // 000000003A6C: 681E110E
	s_branch 26                                                // 000000003A70: BF82001A <_ZN5aiter10DecodeTopKL19topk_per_row_decodeILi1024ELb0ELi4EEEvPKfPKiPiiii+0x1edc>
	s_add_i32 s34, s34, 8                                      // 000000003A74: 81228822
	s_barrier                                                  // 000000003A78: BF8A0000
	v_lshlrev_b32_e32 v2, 2, v25                               // 000000003A7C: 24043282
	ds_write_b32 v2, v24                                       // 000000003A80: D81A0000 00001802
	v_lshlrev_b32_e32 v3, 2, v8                                // 000000003A88: 24061082
	ds_write_b32 v3, v23                                       // 000000003A8C: D81A0000 00001703
	s_waitcnt lgkmcnt(0)                                       // 000000003A94: BF8CC07F
	s_barrier                                                  // 000000003A98: BF8A0000
	ds_read2st64_b32 v[0:1], v19 offset1:1                     // 000000003A9C: D8700100 00000013
	s_waitcnt lgkmcnt(0)                                       // 000000003AA4: BF8CC07F
	s_barrier                                                  // 000000003AA8: BF8A0000
	ds_write_b32 v2, v21                                       // 000000003AAC: D81A0000 00001502
	ds_write_b32 v3, v20                                       // 000000003AB4: D81A0000 00001403
	s_waitcnt lgkmcnt(0)                                       // 000000003ABC: BF8CC07F
	s_barrier                                                  // 000000003AC0: BF8A0000
	ds_read2st64_b32 v[2:3], v19 offset1:1                     // 000000003AC4: D8700100 02000013
	s_waitcnt lgkmcnt(0)                                       // 000000003ACC: BF8CC07F
	s_barrier                                                  // 000000003AD0: BF8A0000
	s_mov_b64 vcc, exec                                        // 000000003AD4: BEEA017E
	s_cbranch_execz 331                                        // 000000003AD8: BF88014B <_ZN5aiter10DecodeTopKL19topk_per_row_decodeILi1024ELb0ELi4EEEvPKfPKiPiiii+0x2408>
	v_mov_b32_e32 v23, v1                                      // 000000003ADC: 7E2E0301
	v_mov_b32_e32 v24, v0                                      // 000000003AE0: 7E300300
	v_mov_b32_e32 v20, v3                                      // 000000003AE4: 7E280303
	v_mov_b32_e32 v21, v2                                      // 000000003AE8: 7E2A0302
	ds_write2_b64 v14, v[4:5], v[6:7] offset0:8 offset1:9      // 000000003AEC: D89C0908 0006040E
	s_waitcnt lgkmcnt(0)                                       // 000000003AF4: BF8CC07F
	s_barrier                                                  // 000000003AF8: BF8A0000
	v_cmp_ne_u32_e32 vcc, s35, v24                             // 000000003AFC: 7D9A3023
	s_nop 1                                                    // 000000003B00: BF800001
	v_cndmask_b32_e32 v0, v11, v24, vcc                        // 000000003B04: 0000310B
	v_lshrrev_b32_e32 v2, s34, v0                              // 000000003B08: 20040022
	v_bfe_u32 v1, v0, s34, 8                                   // 000000003B0C: D1C80001 02204500
	v_lshl_add_u32 v1, v1, 4, v22                              // 000000003B14: D1FD0001 04590901
	v_lshl_add_u32 v25, v1, 2, 64                              // 000000003B1C: D1FD0019 03010501
	v_bfe_u32 v8, v0, s34, 1                                   // 000000003B24: D1C80008 02044500
	v_lshl_add_u64 v[0:1], v[8:9], 0, -1                       // 000000003B2C: D2080000 03050108
	v_cmp_ne_u32_e32 vcc, 0, v8                                // 000000003B34: 7D9A1080
	s_nop 1                                                    // 000000003B38: BF800001
	v_xor_b32_e32 v1, vcc_hi, v1                               // 000000003B3C: 2A02026B
	v_xor_b32_e32 v0, vcc_lo, v0                               // 000000003B40: 2A00006A
	v_and_b32_e32 v3, exec_hi, v1                              // 000000003B44: 2606027F
	v_and_b32_e32 v8, exec_lo, v0                              // 000000003B48: 2610007E
	v_lshlrev_b32_e32 v1, 30, v2                               // 000000003B4C: 2402049E
	v_mov_b32_e32 v0, v9                                       // 000000003B50: 7E000309
	v_cmp_gt_i64_e32 vcc, 0, v[0:1]                            // 000000003B54: 7DC80080
	v_not_b32_e32 v0, v1                                       // 000000003B58: 7E005701
	v_ashrrev_i32_e32 v0, 31, v0                               // 000000003B5C: 2200009F
	v_xor_b32_e32 v1, vcc_hi, v0                               // 000000003B60: 2A02006B
	v_xor_b32_e32 v0, vcc_lo, v0                               // 000000003B64: 2A00006A
	v_and_b32_e32 v3, v3, v1                                   // 000000003B68: 26060303
	v_and_b32_e32 v8, v8, v0                                   // 000000003B6C: 26100108
	v_lshlrev_b32_e32 v1, 29, v2                               // 000000003B70: 2402049D
	v_mov_b32_e32 v0, v9                                       // 000000003B74: 7E000309
	v_cmp_gt_i64_e32 vcc, 0, v[0:1]                            // 000000003B78: 7DC80080
	v_not_b32_e32 v0, v1                                       // 000000003B7C: 7E005701
	v_ashrrev_i32_e32 v0, 31, v0                               // 000000003B80: 2200009F
	v_xor_b32_e32 v1, vcc_hi, v0                               // 000000003B84: 2A02006B
	v_xor_b32_e32 v0, vcc_lo, v0                               // 000000003B88: 2A00006A
	v_and_b32_e32 v3, v3, v1                                   // 000000003B8C: 26060303
	v_and_b32_e32 v8, v8, v0                                   // 000000003B90: 26100108
	v_lshlrev_b32_e32 v1, 28, v2                               // 000000003B94: 2402049C
	v_mov_b32_e32 v0, v9                                       // 000000003B98: 7E000309
	v_cmp_gt_i64_e32 vcc, 0, v[0:1]                            // 000000003B9C: 7DC80080
	v_not_b32_e32 v0, v1                                       // 000000003BA0: 7E005701
	v_ashrrev_i32_e32 v0, 31, v0                               // 000000003BA4: 2200009F
	v_xor_b32_e32 v1, vcc_hi, v0                               // 000000003BA8: 2A02006B
	v_xor_b32_e32 v0, vcc_lo, v0                               // 000000003BAC: 2A00006A
	v_and_b32_e32 v3, v3, v1                                   // 000000003BB0: 26060303
	v_and_b32_e32 v8, v8, v0                                   // 000000003BB4: 26100108
	v_lshlrev_b32_e32 v1, 27, v2                               // 000000003BB8: 2402049B
	v_mov_b32_e32 v0, v9                                       // 000000003BBC: 7E000309
	v_cmp_gt_i64_e32 vcc, 0, v[0:1]                            // 000000003BC0: 7DC80080
	v_not_b32_e32 v0, v1                                       // 000000003BC4: 7E005701
	v_ashrrev_i32_e32 v0, 31, v0                               // 000000003BC8: 2200009F
	v_xor_b32_e32 v1, vcc_hi, v0                               // 000000003BCC: 2A02006B
	v_xor_b32_e32 v0, vcc_lo, v0                               // 000000003BD0: 2A00006A
	v_and_b32_e32 v3, v3, v1                                   // 000000003BD4: 26060303
	v_and_b32_e32 v8, v8, v0                                   // 000000003BD8: 26100108
	v_lshlrev_b32_e32 v1, 26, v2                               // 000000003BDC: 2402049A
	v_mov_b32_e32 v0, v9                                       // 000000003BE0: 7E000309
	v_cmp_gt_i64_e32 vcc, 0, v[0:1]                            // 000000003BE4: 7DC80080
	v_not_b32_e32 v0, v1                                       // 000000003BE8: 7E005701
	v_ashrrev_i32_e32 v0, 31, v0                               // 000000003BEC: 2200009F
	v_xor_b32_e32 v1, vcc_hi, v0                               // 000000003BF0: 2A02006B
	v_xor_b32_e32 v0, vcc_lo, v0                               // 000000003BF4: 2A00006A
	v_and_b32_e32 v3, v3, v1                                   // 000000003BF8: 26060303
	v_and_b32_e32 v8, v8, v0                                   // 000000003BFC: 26100108
	v_lshlrev_b32_e32 v1, 25, v2                               // 000000003C00: 24020499
	v_mov_b32_e32 v0, v9                                       // 000000003C04: 7E000309
	v_cmp_gt_i64_e32 vcc, 0, v[0:1]                            // 000000003C08: 7DC80080
	v_not_b32_e32 v0, v1                                       // 000000003C0C: 7E005701
	v_ashrrev_i32_e32 v0, 31, v0                               // 000000003C10: 2200009F
	v_xor_b32_e32 v1, vcc_hi, v0                               // 000000003C14: 2A02006B
	v_xor_b32_e32 v0, vcc_lo, v0                               // 000000003C18: 2A00006A
	v_and_b32_e32 v3, v3, v1                                   // 000000003C1C: 26060303
	v_and_b32_e32 v8, v8, v0                                   // 000000003C20: 26100108
	v_lshlrev_b32_e32 v1, 24, v2                               // 000000003C24: 24020498
	v_mov_b32_e32 v0, v9                                       // 000000003C28: 7E000309
	v_cmp_gt_i64_e32 vcc, 0, v[0:1]                            // 000000003C2C: 7DC80080
	v_not_b32_e32 v0, v1                                       // 000000003C30: 7E005701
	v_ashrrev_i32_e32 v0, 31, v0                               // 000000003C34: 2200009F
	v_xor_b32_e32 v1, vcc_hi, v0                               // 000000003C38: 2A02006B
	v_xor_b32_e32 v0, vcc_lo, v0                               // 000000003C3C: 2A00006A
	v_and_b32_e32 v1, v3, v1                                   // 000000003C40: 26020303
	v_and_b32_e32 v0, v8, v0                                   // 000000003C44: 26000108
	v_mbcnt_lo_u32_b32 v2, v0, 0                               // 000000003C48: D28C0002 00010100
	v_mbcnt_hi_u32_b32 v26, v1, v2                             // 000000003C50: D28D001A 00020501
	v_cmp_eq_u32_e32 vcc, 0, v26                               // 000000003C58: 7D943480
	v_cmp_ne_u64_e64 s[26:27], 0, v[0:1]                       // 000000003C5C: D0ED001A 00020080
	s_and_b64 s[42:43], s[26:27], vcc                          // 000000003C64: 86AA6A1A
	s_and_saveexec_b64 s[26:27], s[42:43]                      // 000000003C68: BE9A202A
	s_cbranch_execz 6                                          // 000000003C6C: BF880006 <_ZN5aiter10DecodeTopKL19topk_per_row_decodeILi1024ELb0ELi4EEEvPKfPKiPiiii+0x2088>
	v_bcnt_u32_b32 v0, v0, 0                                   // 000000003C70: D28B0000 00010100
	v_bcnt_u32_b32 v0, v1, v0                                  // 000000003C78: D28B0000 00020101
	ds_write_b32 v25, v0                                       // 000000003C80: D81A0000 00000019
	s_or_b64 exec, exec, s[26:27]                              // 000000003C88: 87FE1A7E
	v_cmp_ne_u32_e32 vcc, s35, v23                             // 000000003C8C: 7D9A2E23
	s_nop 1                                                    // 000000003C90: BF800001
	v_cndmask_b32_e32 v0, v11, v23, vcc                        // 000000003C94: 00002F0B
	v_lshrrev_b32_e32 v2, s34, v0                              // 000000003C98: 20040022
	v_bfe_u32 v1, v0, s34, 8                                   // 000000003C9C: D1C80001 02204500
	v_lshlrev_b32_e32 v1, 4, v1                                // 000000003CA4: 24020284
	v_add_lshl_u32 v1, v1, v22, 2                              // 000000003CA8: D1FE0001 020A2D01
	v_add_u32_e32 v28, 64, v1                                  // 000000003CB0: 683802C0
	ds_read_b32 v27, v1 offset:64                              // 000000003CB4: D86C0040 1B000001
	v_bfe_u32 v8, v0, s34, 1                                   // 000000003CBC: D1C80008 02044500
	v_lshl_add_u64 v[0:1], v[8:9], 0, -1                       // 000000003CC4: D2080000 03050108
	v_cmp_ne_u32_e32 vcc, 0, v8                                // 000000003CCC: 7D9A1080
	s_nop 1                                                    // 000000003CD0: BF800001
	v_xor_b32_e32 v1, vcc_hi, v1                               // 000000003CD4: 2A02026B
	v_xor_b32_e32 v0, vcc_lo, v0                               // 000000003CD8: 2A00006A
	v_and_b32_e32 v3, exec_hi, v1                              // 000000003CDC: 2606027F
	v_and_b32_e32 v8, exec_lo, v0                              // 000000003CE0: 2610007E
	v_lshlrev_b32_e32 v1, 30, v2                               // 000000003CE4: 2402049E
	v_mov_b32_e32 v0, v9                                       // 000000003CE8: 7E000309
	v_cmp_gt_i64_e32 vcc, 0, v[0:1]                            // 000000003CEC: 7DC80080
	v_not_b32_e32 v0, v1                                       // 000000003CF0: 7E005701
	v_ashrrev_i32_e32 v0, 31, v0                               // 000000003CF4: 2200009F
	v_xor_b32_e32 v1, vcc_hi, v0                               // 000000003CF8: 2A02006B
	v_xor_b32_e32 v0, vcc_lo, v0                               // 000000003CFC: 2A00006A
	v_and_b32_e32 v3, v3, v1                                   // 000000003D00: 26060303
	v_and_b32_e32 v8, v8, v0                                   // 000000003D04: 26100108
	v_lshlrev_b32_e32 v1, 29, v2                               // 000000003D08: 2402049D
	v_mov_b32_e32 v0, v9                                       // 000000003D0C: 7E000309
	v_cmp_gt_i64_e32 vcc, 0, v[0:1]                            // 000000003D10: 7DC80080
	v_not_b32_e32 v0, v1                                       // 000000003D14: 7E005701
	v_ashrrev_i32_e32 v0, 31, v0                               // 000000003D18: 2200009F
	v_xor_b32_e32 v1, vcc_hi, v0                               // 000000003D1C: 2A02006B
	v_xor_b32_e32 v0, vcc_lo, v0                               // 000000003D20: 2A00006A
	v_and_b32_e32 v3, v3, v1                                   // 000000003D24: 26060303
	v_and_b32_e32 v8, v8, v0                                   // 000000003D28: 26100108
	v_lshlrev_b32_e32 v1, 28, v2                               // 000000003D2C: 2402049C
	v_mov_b32_e32 v0, v9                                       // 000000003D30: 7E000309
	v_cmp_gt_i64_e32 vcc, 0, v[0:1]                            // 000000003D34: 7DC80080
	v_not_b32_e32 v0, v1                                       // 000000003D38: 7E005701
	v_ashrrev_i32_e32 v0, 31, v0                               // 000000003D3C: 2200009F
	v_xor_b32_e32 v1, vcc_hi, v0                               // 000000003D40: 2A02006B
	v_xor_b32_e32 v0, vcc_lo, v0                               // 000000003D44: 2A00006A
	v_and_b32_e32 v3, v3, v1                                   // 000000003D48: 26060303
	v_and_b32_e32 v8, v8, v0                                   // 000000003D4C: 26100108
	v_lshlrev_b32_e32 v1, 27, v2                               // 000000003D50: 2402049B
	v_mov_b32_e32 v0, v9                                       // 000000003D54: 7E000309
	v_cmp_gt_i64_e32 vcc, 0, v[0:1]                            // 000000003D58: 7DC80080
	v_not_b32_e32 v0, v1                                       // 000000003D5C: 7E005701
	v_ashrrev_i32_e32 v0, 31, v0                               // 000000003D60: 2200009F
	v_xor_b32_e32 v1, vcc_hi, v0                               // 000000003D64: 2A02006B
	v_xor_b32_e32 v0, vcc_lo, v0                               // 000000003D68: 2A00006A
	v_and_b32_e32 v3, v3, v1                                   // 000000003D6C: 26060303
	v_and_b32_e32 v8, v8, v0                                   // 000000003D70: 26100108
	v_lshlrev_b32_e32 v1, 26, v2                               // 000000003D74: 2402049A
	v_mov_b32_e32 v0, v9                                       // 000000003D78: 7E000309
	v_cmp_gt_i64_e32 vcc, 0, v[0:1]                            // 000000003D7C: 7DC80080
	v_not_b32_e32 v0, v1                                       // 000000003D80: 7E005701
	v_ashrrev_i32_e32 v0, 31, v0                               // 000000003D84: 2200009F
	v_xor_b32_e32 v1, vcc_hi, v0                               // 000000003D88: 2A02006B
	v_xor_b32_e32 v0, vcc_lo, v0                               // 000000003D8C: 2A00006A
	v_and_b32_e32 v3, v3, v1                                   // 000000003D90: 26060303
	v_and_b32_e32 v8, v8, v0                                   // 000000003D94: 26100108
	v_lshlrev_b32_e32 v1, 25, v2                               // 000000003D98: 24020499
	v_mov_b32_e32 v0, v9                                       // 000000003D9C: 7E000309
	v_cmp_gt_i64_e32 vcc, 0, v[0:1]                            // 000000003DA0: 7DC80080
	v_not_b32_e32 v0, v1                                       // 000000003DA4: 7E005701
	v_ashrrev_i32_e32 v0, 31, v0                               // 000000003DA8: 2200009F
	v_xor_b32_e32 v1, vcc_hi, v0                               // 000000003DAC: 2A02006B
	v_xor_b32_e32 v0, vcc_lo, v0                               // 000000003DB0: 2A00006A
	v_and_b32_e32 v3, v3, v1                                   // 000000003DB4: 26060303
	v_and_b32_e32 v8, v8, v0                                   // 000000003DB8: 26100108
	v_lshlrev_b32_e32 v1, 24, v2                               // 000000003DBC: 24020498
	v_mov_b32_e32 v0, v9                                       // 000000003DC0: 7E000309
	v_cmp_gt_i64_e32 vcc, 0, v[0:1]                            // 000000003DC4: 7DC80080
	v_not_b32_e32 v0, v1                                       // 000000003DC8: 7E005701
	v_ashrrev_i32_e32 v0, 31, v0                               // 000000003DCC: 2200009F
	v_xor_b32_e32 v1, vcc_hi, v0                               // 000000003DD0: 2A02006B
	v_xor_b32_e32 v0, vcc_lo, v0                               // 000000003DD4: 2A00006A
	v_and_b32_e32 v1, v3, v1                                   // 000000003DD8: 26020303
	v_and_b32_e32 v0, v8, v0                                   // 000000003DDC: 26000108
	v_mbcnt_lo_u32_b32 v2, v0, 0                               // 000000003DE0: D28C0002 00010100
	v_mbcnt_hi_u32_b32 v8, v1, v2                              // 000000003DE8: D28D0008 00020501
	v_cmp_eq_u32_e32 vcc, 0, v8                                // 000000003DF0: 7D941080
	v_cmp_ne_u64_e64 s[26:27], 0, v[0:1]                       // 000000003DF4: D0ED001A 00020080
	s_and_b64 s[42:43], s[26:27], vcc                          // 000000003DFC: 86AA6A1A
	s_and_saveexec_b64 s[26:27], s[42:43]                      // 000000003E00: BE9A202A
	s_cbranch_execz 8                                          // 000000003E04: BF880008 <_ZN5aiter10DecodeTopKL19topk_per_row_decodeILi1024ELb0ELi4EEEvPKfPKiPiiii+0x2228>
	v_bcnt_u32_b32 v0, v0, 0                                   // 000000003E08: D28B0000 00010100
	v_bcnt_u32_b32 v0, v1, v0                                  // 000000003E10: D28B0000 00020101
	s_waitcnt lgkmcnt(0)                                       // 000000003E18: BF8CC07F
	v_add_u32_e32 v0, v27, v0                                  // 000000003E1C: 6800011B
	ds_write_b32 v28, v0                                       // 000000003E20: D81A0000 0000001C
	s_or_b64 exec, exec, s[26:27]                              // 000000003E28: 87FE1A7E
	s_waitcnt lgkmcnt(0)                                       // 000000003E2C: BF8CC07F
	s_barrier                                                  // 000000003E30: BF8A0000
	ds_read2_b64 v[0:3], v14 offset0:8 offset1:9               // 000000003E34: D8EE0908 0000000E
	s_waitcnt lgkmcnt(0)                                       // 000000003E3C: BF8CC07F
	v_add_u32_e32 v29, v1, v0                                  // 000000003E40: 683A0101
	v_add3_u32 v3, v29, v2, v3                                 // 000000003E44: D1FF0003 040E051D
	s_nop 1                                                    // 000000003E4C: BF800001
	v_mov_b32_dpp v29, v3 row_shr:1 row_mask:0xf bank_mask:0xf // 000000003E50: 7E3A02FA FF011103
	v_cndmask_b32_e64 v29, v29, 0, s[0:1]                      // 000000003E58: D100001D 0001011D
	v_add_u32_e32 v3, v29, v3                                  // 000000003E60: 6806071D
	s_nop 1                                                    // 000000003E64: BF800001
	v_mov_b32_dpp v29, v3 row_shr:2 row_mask:0xf bank_mask:0xf // 000000003E68: 7E3A02FA FF011203
	v_cndmask_b32_e64 v29, 0, v29, s[4:5]                      // 000000003E70: D100001D 00123A80
	v_add_u32_e32 v3, v3, v29                                  // 000000003E78: 68063B03
	s_nop 1                                                    // 000000003E7C: BF800001
	v_mov_b32_dpp v29, v3 row_shr:4 row_mask:0xf bank_mask:0xf // 000000003E80: 7E3A02FA FF011403
	v_cndmask_b32_e64 v29, 0, v29, s[6:7]                      // 000000003E88: D100001D 001A3A80
	v_add_u32_e32 v3, v3, v29                                  // 000000003E90: 68063B03
	s_nop 1                                                    // 000000003E94: BF800001
	v_mov_b32_dpp v29, v3 row_shr:8 row_mask:0xf bank_mask:0xf // 000000003E98: 7E3A02FA FF011803
	v_cndmask_b32_e64 v29, 0, v29, s[10:11]                    // 000000003EA0: D100001D 002A3A80
	v_add_u32_e32 v3, v3, v29                                  // 000000003EA8: 68063B03
	s_nop 1                                                    // 000000003EAC: BF800001
	v_mov_b32_dpp v29, v3 row_bcast:15 row_mask:0xf bank_mask:0xf// 000000003EB0: 7E3A02FA FF014203
	v_cndmask_b32_e64 v29, v29, 0, s[24:25]                    // 000000003EB8: D100001D 0061011D
	v_add_u32_e32 v3, v3, v29                                  // 000000003EC0: 68063B03
	s_nop 1                                                    // 000000003EC4: BF800001
	v_mov_b32_dpp v29, v3 row_bcast:31 row_mask:0xf bank_mask:0xf// 000000003EC8: 7E3A02FA FF014303
	v_cndmask_b32_e64 v29, 0, v29, s[14:15]                    // 000000003ED0: D100001D 003A3A80
	v_add_u32_e32 v3, v3, v29                                  // 000000003ED8: 68063B03
	s_and_saveexec_b64 s[26:27], s[18:19]                      // 000000003EDC: BE9A2012
	s_cbranch_execz 2                                          // 000000003EE0: BF880002 <_ZN5aiter10DecodeTopKL19topk_per_row_decodeILi1024ELb0ELi4EEEvPKfPKiPiiii+0x22ec>
	ds_write_b32 v17, v3                                       // 000000003EE4: D81A0000 00000311
	s_or_b64 exec, exec, s[26:27]                              // 000000003EEC: 87FE1A7E
	s_waitcnt lgkmcnt(0)                                       // 000000003EF0: BF8CC07F
	s_barrier                                                  // 000000003EF4: BF8A0000
	s_and_saveexec_b64 s[26:27], s[20:21]                      // 000000003EF8: BE9A2014
	s_cbranch_execz 29                                         // 000000003EFC: BF88001D <_ZN5aiter10DecodeTopKL19topk_per_row_decodeILi1024ELb0ELi4EEEvPKfPKiPiiii+0x2374>
	ds_read_b32 v29, v15                                       // 000000003F00: D86C0000 1D00000F
	s_waitcnt lgkmcnt(0)                                       // 000000003F08: BF8CC07F
	s_nop 0                                                    // 000000003F0C: BF800000
	v_mov_b32_dpp v30, v29 row_shr:1 row_mask:0xf bank_mask:0xf// 000000003F10: 7E3C02FA FF01111D
	v_cndmask_b32_e64 v30, v30, 0, s[0:1]                      // 000000003F18: D100001E 0001011E
	v_add_u32_e32 v29, v30, v29                                // 000000003F20: 683A3B1E
	s_nop 1                                                    // 000000003F24: BF800001
	v_mov_b32_dpp v30, v29 row_shr:2 row_mask:0xf bank_mask:0xf// 000000003F28: 7E3C02FA FF01121D
	v_cndmask_b32_e64 v30, 0, v30, s[4:5]                      // 000000003F30: D100001E 00123C80
	v_add_u32_e32 v29, v29, v30                                // 000000003F38: 683A3D1D
	s_nop 1                                                    // 000000003F3C: BF800001
	v_mov_b32_dpp v30, v29 row_shr:4 row_mask:0xf bank_mask:0xf// 000000003F40: 7E3C02FA FF01141D
	v_cndmask_b32_e64 v30, 0, v30, s[6:7]                      // 000000003F48: D100001E 001A3C80
	v_add_u32_e32 v29, v29, v30                                // 000000003F50: 683A3D1D
	s_nop 1                                                    // 000000003F54: BF800001
	v_mov_b32_dpp v30, v29 row_shr:8 row_mask:0xf bank_mask:0xf// 000000003F58: 7E3C02FA FF01181D
	v_cndmask_b32_e64 v30, 0, v30, s[10:11]                    // 000000003F60: D100001E 002A3C80
	v_add_u32_e32 v29, v29, v30                                // 000000003F68: 683A3D1D
	ds_write_b32 v15, v29                                      // 000000003F6C: D81A0000 00001D0F
	s_or_b64 exec, exec, s[26:27]                              // 000000003F74: 87FE1A7E
	s_waitcnt lgkmcnt(0)                                       // 000000003F78: BF8CC07F
	s_barrier                                                  // 000000003F7C: BF8A0000
	v_mov_b32_e32 v29, 0                                       // 000000003F80: 7E3A0280
	s_and_saveexec_b64 s[26:27], s[2:3]                        // 000000003F84: BE9A2002
	s_cbranch_execz 2                                          // 000000003F88: BF880002 <_ZN5aiter10DecodeTopKL19topk_per_row_decodeILi1024ELb0ELi4EEEvPKfPKiPiiii+0x2394>
	ds_read_b32 v29, v18                                       // 000000003F8C: D86C0000 1D000012
	s_or_b64 exec, exec, s[26:27]                              // 000000003F94: 87FE1A7E
	s_waitcnt lgkmcnt(0)                                       // 000000003F98: BF8CC07F
	v_add_u32_e32 v3, v29, v3                                  // 000000003F9C: 6806071D
	ds_bpermute_b32 v3, v16, v3                                // 000000003FA0: D87E0000 03000310
	s_waitcnt lgkmcnt(0)                                       // 000000003FA8: BF8CC07F
	v_cndmask_b32_e64 v3, v3, v29, s[22:23]                    // 000000003FAC: D1000003 005A3B03
	v_cndmask_b32_e64 v30, v3, 0, s[16:17]                     // 000000003FB4: D100001E 00410103
	v_add_u32_e32 v31, v30, v0                                 // 000000003FBC: 683E011E
	v_add_u32_e32 v0, v31, v1                                  // 000000003FC0: 6800031F
	v_add_u32_e32 v1, v0, v2                                   // 000000003FC4: 68020500
	ds_write2_b64 v14, v[30:31], v[0:1] offset0:8 offset1:9    // 000000003FC8: D89C0908 00001E0E
	s_waitcnt lgkmcnt(0)                                       // 000000003FD0: BF8CC07F
	s_barrier                                                  // 000000003FD4: BF8A0000
	ds_read_b32 v0, v25                                        // 000000003FD8: D86C0000 00000019
	ds_read_b32 v1, v28                                        // 000000003FE0: D86C0000 0100001C
	s_cmp_gt_u32 s34, 23                                       // 000000003FE8: BF089722
	s_waitcnt lgkmcnt(1)                                       // 000000003FEC: BF8CC17F
	v_add_u32_e32 v25, v0, v26                                 // 000000003FF0: 68323500
	s_waitcnt lgkmcnt(0)                                       // 000000003FF4: BF8CC07F
	v_add3_u32 v8, v8, v27, v1                                 // 000000003FF8: D1FF0008 04063708
	s_cbranch_scc0 65180                                       // 000000004000: BF84FE9C <_ZN5aiter10DecodeTopKL19topk_per_row_decodeILi1024ELb0ELi4EEEvPKfPKiPiiii+0x1e74>
	s_mov_b64 vcc, 0                                           // 000000004004: BEEA0180
	s_barrier                                                  // 000000004008: BF8A0000
	v_lshlrev_b32_e32 v0, 2, v25                               // 00000000400C: 24003282
	ds_write_b32 v0, v24                                       // 000000004010: D81A0000 00001800
	v_lshlrev_b32_e32 v1, 2, v8                                // 000000004018: 24021082
	ds_write_b32 v1, v23                                       // 00000000401C: D81A0000 00001701
	s_waitcnt lgkmcnt(0)                                       // 000000004024: BF8CC07F
	s_barrier                                                  // 000000004028: BF8A0000
	s_barrier                                                  // 00000000402C: BF8A0000
	ds_write_b32 v0, v21                                       // 000000004030: D81A0000 00001500
	ds_write_b32 v1, v20                                       // 000000004038: D81A0000 00001401
	s_waitcnt lgkmcnt(0)                                       // 000000004040: BF8CC07F
	s_barrier                                                  // 000000004044: BF8A0000
	v_mov_b32_e32 v0, 0                                        // 000000004048: 7E000280
	ds_read_b32 v1, v0 offset:33096                            // 00000000404C: D86C8148 01000000
	ds_read_b32 v0, v13 offset:4096                            // 000000004054: D86C1000 0000000D
	s_waitcnt lgkmcnt(1)                                       // 00000000405C: BF8CC17F
	v_add_u32_e32 v2, v1, v12                                  // 000000004060: 68041901
	s_movk_i32 s2, 0x800                                       // 000000004064: B0020800
	v_cmp_gt_i32_e32 vcc, s2, v2                               // 000000004068: 7D880402
	v_lshlrev_b32_e32 v1, 2, v2                                // 00000000406C: 24020482
	s_and_saveexec_b64 s[0:1], vcc                             // 000000004070: BE80206A
	s_cbranch_execz 5                                          // 000000004074: BF880005 <_ZN5aiter10DecodeTopKL19topk_per_row_decodeILi1024ELb0ELi4EEEvPKfPKiPiiii+0x248c>
	ds_read_b32 v3, v15                                        // 000000004078: D86C0000 0300000F
	s_waitcnt lgkmcnt(0)                                       // 000000004080: BF8CC07F
	ds_write_b32 v1, v3 offset:16448                           // 000000004084: D81A4040 00000301
	s_or_b64 exec, exec, s[0:1]                                // 00000000408C: 87FE007E
	v_add_u32_e32 v2, 0x400, v2                                // 000000004090: 680404FF 00000400
	v_cmp_gt_i32_e32 vcc, s2, v2                               // 000000004098: 7D880402
	s_and_saveexec_b64 s[0:1], vcc                             // 00000000409C: BE80206A
	s_cbranch_execz 3                                          // 0000000040A0: BF880003 <_ZN5aiter10DecodeTopKL19topk_per_row_decodeILi1024ELb0ELi4EEEvPKfPKiPiiii+0x24b0>
	s_waitcnt lgkmcnt(0)                                       // 0000000040A4: BF8CC07F
	ds_write_b32 v1, v0 offset:20544                           // 0000000040A8: D81A5040 00000001
	s_or_b64 exec, exec, s[0:1]                                // 0000000040B0: 87FE007E
	s_mov_b64 s[0:1], 0                                        // 0000000040B4: BE800180
	s_and_b64 vcc, exec, s[0:1]                                // 0000000040B8: 86EA007E
	s_cbranch_vccz 2087                                        // 0000000040BC: BF860827 <_ZN5aiter10DecodeTopKL19topk_per_row_decodeILi1024ELb0ELi4EEEvPKfPKiPiiii+0x455c>
	s_movk_i32 s0, 0x200                                       // 0000000040C0: B0000200
	v_cmp_gt_u32_e32 vcc, s0, v12                              // 0000000040C4: 7D981800
	s_and_saveexec_b64 s[24:25], vcc                           // 0000000040C8: BE98206A
	s_cbranch_execz 2086                                       // 0000000040CC: BF880826 <_ZN5aiter10DecodeTopKL19topk_per_row_decodeILi1024ELb0ELi4EEEvPKfPKiPiiii+0x4568>
	v_cmp_gt_u32_e32 vcc, s38, v12                             // 0000000040D0: 7D981826
	v_mov_b32_e32 v4, -1                                       // 0000000040D4: 7E0802C1
	v_mov_b32_e32 v1, 0xff7fffff                               // 0000000040D8: 7E0202FF FF7FFFFF
	s_and_saveexec_b64 s[0:1], vcc                             // 0000000040E0: BE80206A
	s_cbranch_execz 4                                          // 0000000040E4: BF880004 <_ZN5aiter10DecodeTopKL19topk_per_row_decodeILi1024ELb0ELi4EEEvPKfPKiPiiii+0x24f8>
	ds_read_b32 v1, v13 offset:8208                            // 0000000040E8: D86C2010 0100000D
	ds_read_b32 v4, v13                                        // 0000000040F0: D86C0000 0400000D
	s_or_b64 exec, exec, s[0:1]                                // 0000000040F8: 87FE007E
	v_and_b32_e32 v2, 63, v12                                  // 0000000040FC: 260418BF
	s_waitcnt lgkmcnt(0)                                       // 000000004100: BF8CC07F
	v_and_b32_e32 v0, 64, v12                                  // 000000004104: 260018C0
	v_cmp_eq_u32_e64 s[2:3], 0, v0                             // 000000004108: D0CA0002 00020080
	v_cmp_ne_u32_e64 s[14:15], 0, v0                           // 000000004110: D0CD000E 00020080
	v_mbcnt_lo_u32_b32 v0, -1, 0                               // 000000004118: D28C0000 000100C1
	v_mbcnt_hi_u32_b32 v0, -1, v0                              // 000000004120: D28D0000 000200C1
	v_and_b32_e32 v3, 64, v0                                   // 000000004128: 260600C0
	v_xor_b32_e32 v7, 1, v2                                    // 00000000412C: 2A0E0481
	v_or_b32_e32 v0, v3, v7                                    // 000000004130: 28000F03
	v_lshlrev_b32_e32 v0, 2, v0                                // 000000004134: 24000082
	ds_bpermute_b32 v5, v0, v1                                 // 000000004138: D87E0000 05000100
	ds_bpermute_b32 v6, v0, v4                                 // 000000004140: D87E0000 06000400
	v_and_b32_e32 v8, 2, v12                                   // 000000004148: 26101882
	v_cmp_ne_u32_e64 s[0:1], 0, v8                             // 00000000414C: D0CD0000 00021080
	s_xor_b64 s[4:5], s[2:3], s[0:1]                           // 000000004154: 88840002
	v_cmp_lt_u32_e64 s[0:1], v2, v7                            // 000000004158: D0C90000 00020F02
	s_and_saveexec_b64 s[10:11], s[4:5]                        // 000000004160: BE8A2004
	s_xor_b64 s[10:11], exec, s[10:11]                         // 000000004164: 888A0A7E
	s_cbranch_execz 17                                         // 000000004168: BF880011 <_ZN5aiter10DecodeTopKL19topk_per_row_decodeILi1024ELb0ELi4EEEvPKfPKiPiiii+0x25b0>
	s_waitcnt lgkmcnt(1)                                       // 00000000416C: BF8CC17F
	v_cmp_lt_f32_e64 s[4:5], v1, v5                            // 000000004170: D0410004 00020B01
	s_nop 1                                                    // 000000004178: BF800001
	v_cndmask_b32_e64 v7, 0, 1, s[4:5]                         // 00000000417C: D1000007 00110280
	v_cmp_gt_f32_e64 s[4:5], v1, v5                            // 000000004184: D0440004 00020B01
	s_nop 1                                                    // 00000000418C: BF800001
	v_cndmask_b32_e64 v8, 0, 1, s[4:5]                         // 000000004190: D1000008 00110280
	v_cndmask_b32_e64 v7, v8, v7, s[0:1]                       // 000000004198: D1000007 00020F08
	v_and_b32_e32 v7, 1, v7                                    // 0000000041A0: 260E0E81
	v_cmp_eq_u32_e64 s[4:5], 1, v7                             // 0000000041A4: D0CA0004 00020E81
	s_and_b64 s[6:7], s[4:5], exec                             // 0000000041AC: 86867E04
	s_andn2_saveexec_b64 s[10:11], s[10:11]                    // 0000000041B0: BE8A230A
	s_cbranch_execz 19                                         // 0000000041B4: BF880013 <_ZN5aiter10DecodeTopKL19topk_per_row_decodeILi1024ELb0ELi4EEEvPKfPKiPiiii+0x2604>
	s_waitcnt lgkmcnt(1)                                       // 0000000041B8: BF8CC17F
	v_cmp_gt_f32_e64 s[4:5], v1, v5                            // 0000000041BC: D0440004 00020B01
	s_nop 1                                                    // 0000000041C4: BF800001
	v_cndmask_b32_e64 v7, 0, 1, s[4:5]                         // 0000000041C8: D1000007 00110280
	v_cmp_lt_f32_e64 s[4:5], v1, v5                            // 0000000041D0: D0410004 00020B01
	s_nop 1                                                    // 0000000041D8: BF800001
	v_cndmask_b32_e64 v8, 0, 1, s[4:5]                         // 0000000041DC: D1000008 00110280
	v_cndmask_b32_e64 v7, v8, v7, s[0:1]                       // 0000000041E4: D1000007 00020F08
	v_and_b32_e32 v7, 1, v7                                    // 0000000041EC: 260E0E81
	v_cmp_eq_u32_e64 s[4:5], 1, v7                             // 0000000041F0: D0CA0004 00020E81
	s_andn2_b64 s[6:7], s[6:7], exec                           // 0000000041F8: 89867E06
	s_and_b64 s[4:5], s[4:5], exec                             // 0000000041FC: 86847E04
	s_or_b64 s[6:7], s[6:7], s[4:5]                            // 000000004200: 87860406
	s_or_b64 exec, exec, s[10:11]                              // 000000004204: 87FE0A7E
	s_waitcnt lgkmcnt(0)                                       // 000000004208: BF8CC07F
	v_cndmask_b32_e64 v4, v4, v6, s[6:7]                       // 00000000420C: D1000004 001A0D04
	v_cndmask_b32_e64 v5, v1, v5, s[6:7]                       // 000000004214: D1000005 001A0B01
	v_and_b32_e32 v8, 4, v12                                   // 00000000421C: 26101884
	v_xor_b32_e32 v9, 2, v2                                    // 000000004220: 2A120482
	v_or_b32_e32 v1, v3, v9                                    // 000000004224: 28021303
	v_lshlrev_b32_e32 v1, 2, v1                                // 000000004228: 24020282
	ds_bpermute_b32 v6, v1, v5                                 // 00000000422C: D87E0000 06000501
	ds_bpermute_b32 v7, v1, v4                                 // 000000004234: D87E0000 07000401
	v_cmp_ne_u32_e64 s[4:5], 0, v8                             // 00000000423C: D0CD0004 00021080
	s_xor_b64 s[4:5], s[14:15], s[4:5]                         // 000000004244: 8884040E
	s_xor_b64 s[10:11], s[4:5], -1                             // 000000004248: 888AC104
	v_cmp_lt_u32_e64 s[4:5], v2, v9                            // 00000000424C: D0C90004 00021302
	s_and_saveexec_b64 s[6:7], s[10:11]                        // 000000004254: BE86200A
	s_xor_b64 s[18:19], exec, s[6:7]                           // 000000004258: 8892067E
	s_cbranch_execz 17                                         // 00000000425C: BF880011 <_ZN5aiter10DecodeTopKL19topk_per_row_decodeILi1024ELb0ELi4EEEvPKfPKiPiiii+0x26a4>
	s_waitcnt lgkmcnt(1)                                       // 000000004260: BF8CC17F
	v_cmp_lt_f32_e64 s[6:7], v5, v6                            // 000000004264: D0410006 00020D05
	s_nop 1                                                    // 00000000426C: BF800001
	v_cndmask_b32_e64 v8, 0, 1, s[6:7]                         // 000000004270: D1000008 00190280
	v_cmp_gt_f32_e64 s[6:7], v5, v6                            // 000000004278: D0440006 00020D05
	s_nop 1                                                    // 000000004280: BF800001
	v_cndmask_b32_e64 v9, 0, 1, s[6:7]                         // 000000004284: D1000009 00190280
	v_cndmask_b32_e64 v8, v9, v8, s[4:5]                       // 00000000428C: D1000008 00121109
	v_and_b32_e32 v8, 1, v8                                    // 000000004294: 26101081
	v_cmp_eq_u32_e64 s[6:7], 1, v8                             // 000000004298: D0CA0006 00021081
	s_and_b64 s[16:17], s[6:7], exec                           // 0000000042A0: 86907E06
	s_andn2_saveexec_b64 s[18:19], s[18:19]                    // 0000000042A4: BE922312
	s_cbranch_execz 19                                         // 0000000042A8: BF880013 <_ZN5aiter10DecodeTopKL19topk_per_row_decodeILi1024ELb0ELi4EEEvPKfPKiPiiii+0x26f8>
	s_waitcnt lgkmcnt(1)                                       // 0000000042AC: BF8CC17F
	v_cmp_gt_f32_e64 s[6:7], v5, v6                            // 0000000042B0: D0440006 00020D05
	s_nop 1                                                    // 0000000042B8: BF800001
	v_cndmask_b32_e64 v8, 0, 1, s[6:7]                         // 0000000042BC: D1000008 00190280
	v_cmp_lt_f32_e64 s[6:7], v5, v6                            // 0000000042C4: D0410006 00020D05
	s_nop 1                                                    // 0000000042CC: BF800001
	v_cndmask_b32_e64 v9, 0, 1, s[6:7]                         // 0000000042D0: D1000009 00190280
	v_cndmask_b32_e64 v8, v9, v8, s[4:5]                       // 0000000042D8: D1000008 00121109
	v_and_b32_e32 v8, 1, v8                                    // 0000000042E0: 26101081
	v_cmp_eq_u32_e64 s[6:7], 1, v8                             // 0000000042E4: D0CA0006 00021081
	s_andn2_b64 s[16:17], s[16:17], exec                       // 0000000042EC: 89907E10
	s_and_b64 s[6:7], s[6:7], exec                             // 0000000042F0: 86867E06
	s_or_b64 s[16:17], s[16:17], s[6:7]                        // 0000000042F4: 87900610
	s_or_b64 exec, exec, s[18:19]                              // 0000000042F8: 87FE127E
	s_waitcnt lgkmcnt(0)                                       // 0000000042FC: BF8CC07F
	v_cndmask_b32_e64 v4, v4, v7, s[16:17]                     // 000000004300: D1000004 00420F04
	v_cndmask_b32_e64 v6, v5, v6, s[16:17]                     // 000000004308: D1000006 00420D05
	ds_bpermute_b32 v7, v0, v6                                 // 000000004310: D87E0000 07000600
	ds_bpermute_b32 v5, v0, v4                                 // 000000004318: D87E0000 05000400
	s_and_saveexec_b64 s[6:7], s[10:11]                        // 000000004320: BE86200A
	s_xor_b64 s[10:11], exec, s[6:7]                           // 000000004324: 888A067E
	s_cbranch_execz 17                                         // 000000004328: BF880011 <_ZN5aiter10DecodeTopKL19topk_per_row_decodeILi1024ELb0ELi4EEEvPKfPKiPiiii+0x2770>
	s_waitcnt lgkmcnt(1)                                       // 00000000432C: BF8CC17F
	v_cmp_lt_f32_e64 s[6:7], v6, v7                            // 000000004330: D0410006 00020F06
	s_nop 1                                                    // 000000004338: BF800001
	v_cndmask_b32_e64 v8, 0, 1, s[6:7]                         // 00000000433C: D1000008 00190280
	v_cmp_gt_f32_e64 s[6:7], v6, v7                            // 000000004344: D0440006 00020F06
	s_nop 1                                                    // 00000000434C: BF800001
	v_cndmask_b32_e64 v9, 0, 1, s[6:7]                         // 000000004350: D1000009 00190280
	v_cndmask_b32_e64 v8, v9, v8, s[0:1]                       // 000000004358: D1000008 00021109
	v_and_b32_e32 v8, 1, v8                                    // 000000004360: 26101081
	v_cmp_eq_u32_e64 s[6:7], 1, v8                             // 000000004364: D0CA0006 00021081
	s_and_b64 s[16:17], s[6:7], exec                           // 00000000436C: 86907E06
	s_andn2_saveexec_b64 s[10:11], s[10:11]                    // 000000004370: BE8A230A
	s_cbranch_execz 19                                         // 000000004374: BF880013 <_ZN5aiter10DecodeTopKL19topk_per_row_decodeILi1024ELb0ELi4EEEvPKfPKiPiiii+0x27c4>
	s_waitcnt lgkmcnt(1)                                       // 000000004378: BF8CC17F
	v_cmp_gt_f32_e64 s[6:7], v6, v7                            // 00000000437C: D0440006 00020F06
	s_nop 1                                                    // 000000004384: BF800001
	v_cndmask_b32_e64 v8, 0, 1, s[6:7]                         // 000000004388: D1000008 00190280
	v_cmp_lt_f32_e64 s[6:7], v6, v7                            // 000000004390: D0410006 00020F06
	s_nop 1                                                    // 000000004398: BF800001
	v_cndmask_b32_e64 v9, 0, 1, s[6:7]                         // 00000000439C: D1000009 00190280
	v_cndmask_b32_e64 v8, v9, v8, s[0:1]                       // 0000000043A4: D1000008 00021109
	v_and_b32_e32 v8, 1, v8                                    // 0000000043AC: 26101081
	v_cmp_eq_u32_e64 s[6:7], 1, v8                             // 0000000043B0: D0CA0006 00021081
	s_andn2_b64 s[16:17], s[16:17], exec                       // 0000000043B8: 89907E10
	s_and_b64 s[6:7], s[6:7], exec                             // 0000000043BC: 86867E06
	s_or_b64 s[16:17], s[16:17], s[6:7]                        // 0000000043C0: 87900610
	s_or_b64 exec, exec, s[10:11]                              // 0000000043C4: 87FE0A7E
	s_waitcnt lgkmcnt(0)                                       // 0000000043C8: BF8CC07F
	v_cndmask_b32_e64 v5, v4, v5, s[16:17]                     // 0000000043CC: D1000005 00420B04
	v_cndmask_b32_e64 v6, v6, v7, s[16:17]                     // 0000000043D4: D1000006 00420F06
	v_and_b32_e32 v9, 8, v12                                   // 0000000043DC: 26121888
	v_xor_b32_e32 v11, 4, v2                                   // 0000000043E0: 2A160484
	v_or_b32_e32 v4, v3, v11                                   // 0000000043E4: 28081703
	v_lshlrev_b32_e32 v4, 2, v4                                // 0000000043E8: 24080882
	ds_bpermute_b32 v7, v4, v6                                 // 0000000043EC: D87E0000 07000604
	ds_bpermute_b32 v8, v4, v5                                 // 0000000043F4: D87E0000 08000504
	v_cmp_ne_u32_e64 s[6:7], 0, v9                             // 0000000043FC: D0CD0006 00021280
	s_xor_b64 s[6:7], s[14:15], s[6:7]                         // 000000004404: 8886060E
	s_xor_b64 s[16:17], s[6:7], -1                             // 000000004408: 8890C106
	v_cmp_lt_u32_e64 s[6:7], v2, v11                           // 00000000440C: D0C90006 00021702
	s_and_saveexec_b64 s[10:11], s[16:17]                      // 000000004414: BE8A2010
	s_xor_b64 s[20:21], exec, s[10:11]                         // 000000004418: 88940A7E
	s_cbranch_execz 17                                         // 00000000441C: BF880011 <_ZN5aiter10DecodeTopKL19topk_per_row_decodeILi1024ELb0ELi4EEEvPKfPKiPiiii+0x2864>
	s_waitcnt lgkmcnt(1)                                       // 000000004420: BF8CC17F
	v_cmp_lt_f32_e64 s[10:11], v6, v7                          // 000000004424: D041000A 00020F06
	s_nop 1                                                    // 00000000442C: BF800001
	v_cndmask_b32_e64 v9, 0, 1, s[10:11]                       // 000000004430: D1000009 00290280
	v_cmp_gt_f32_e64 s[10:11], v6, v7                          // 000000004438: D044000A 00020F06
	s_nop 1                                                    // 000000004440: BF800001
	v_cndmask_b32_e64 v11, 0, 1, s[10:11]                      // 000000004444: D100000B 00290280
	v_cndmask_b32_e64 v9, v11, v9, s[6:7]                      // 00000000444C: D1000009 001A130B
	v_and_b32_e32 v9, 1, v9                                    // 000000004454: 26121281
	v_cmp_eq_u32_e64 s[10:11], 1, v9                           // 000000004458: D0CA000A 00021281
	s_and_b64 s[18:19], s[10:11], exec                         // 000000004460: 86927E0A
	s_andn2_saveexec_b64 s[20:21], s[20:21]                    // 000000004464: BE942314
	s_cbranch_execz 19                                         // 000000004468: BF880013 <_ZN5aiter10DecodeTopKL19topk_per_row_decodeILi1024ELb0ELi4EEEvPKfPKiPiiii+0x28b8>
	s_waitcnt lgkmcnt(1)                                       // 00000000446C: BF8CC17F
	v_cmp_gt_f32_e64 s[10:11], v6, v7                          // 000000004470: D044000A 00020F06
	s_nop 1                                                    // 000000004478: BF800001
	v_cndmask_b32_e64 v9, 0, 1, s[10:11]                       // 00000000447C: D1000009 00290280
	v_cmp_lt_f32_e64 s[10:11], v6, v7                          // 000000004484: D041000A 00020F06
	s_nop 1                                                    // 00000000448C: BF800001
	v_cndmask_b32_e64 v11, 0, 1, s[10:11]                      // 000000004490: D100000B 00290280
	v_cndmask_b32_e64 v9, v11, v9, s[6:7]                      // 000000004498: D1000009 001A130B
	v_and_b32_e32 v9, 1, v9                                    // 0000000044A0: 26121281
	v_cmp_eq_u32_e64 s[10:11], 1, v9                           // 0000000044A4: D0CA000A 00021281
	s_andn2_b64 s[18:19], s[18:19], exec                       // 0000000044AC: 89927E12
	s_and_b64 s[10:11], s[10:11], exec                         // 0000000044B0: 868A7E0A
	s_or_b64 s[18:19], s[18:19], s[10:11]                      // 0000000044B4: 87920A12
	s_or_b64 exec, exec, s[20:21]                              // 0000000044B8: 87FE147E
	s_waitcnt lgkmcnt(0)                                       // 0000000044BC: BF8CC07F
	v_cndmask_b32_e64 v5, v5, v8, s[18:19]                     // 0000000044C0: D1000005 004A1105
	v_cndmask_b32_e64 v6, v6, v7, s[18:19]                     // 0000000044C8: D1000006 004A0F06
	ds_bpermute_b32 v7, v1, v6                                 // 0000000044D0: D87E0000 07000601
	ds_bpermute_b32 v8, v1, v5                                 // 0000000044D8: D87E0000 08000501
	s_and_saveexec_b64 s[10:11], s[16:17]                      // 0000000044E0: BE8A2010
	s_xor_b64 s[20:21], exec, s[10:11]                         // 0000000044E4: 88940A7E
	s_cbranch_execz 17                                         // 0000000044E8: BF880011 <_ZN5aiter10DecodeTopKL19topk_per_row_decodeILi1024ELb0ELi4EEEvPKfPKiPiiii+0x2930>
	s_waitcnt lgkmcnt(1)                                       // 0000000044EC: BF8CC17F
	v_cmp_lt_f32_e64 s[10:11], v6, v7                          // 0000000044F0: D041000A 00020F06
	s_nop 1                                                    // 0000000044F8: BF800001
	v_cndmask_b32_e64 v9, 0, 1, s[10:11]                       // 0000000044FC: D1000009 00290280
	v_cmp_gt_f32_e64 s[10:11], v6, v7                          // 000000004504: D044000A 00020F06
	s_nop 1                                                    // 00000000450C: BF800001
	v_cndmask_b32_e64 v11, 0, 1, s[10:11]                      // 000000004510: D100000B 00290280
	v_cndmask_b32_e64 v9, v11, v9, s[4:5]                      // 000000004518: D1000009 0012130B
	v_and_b32_e32 v9, 1, v9                                    // 000000004520: 26121281
	v_cmp_eq_u32_e64 s[10:11], 1, v9                           // 000000004524: D0CA000A 00021281
	s_and_b64 s[18:19], s[10:11], exec                         // 00000000452C: 86927E0A
	s_andn2_saveexec_b64 s[20:21], s[20:21]                    // 000000004530: BE942314
	s_cbranch_execz 19                                         // 000000004534: BF880013 <_ZN5aiter10DecodeTopKL19topk_per_row_decodeILi1024ELb0ELi4EEEvPKfPKiPiiii+0x2984>
	s_waitcnt lgkmcnt(1)                                       // 000000004538: BF8CC17F
	v_cmp_gt_f32_e64 s[10:11], v6, v7                          // 00000000453C: D044000A 00020F06
	s_nop 1                                                    // 000000004544: BF800001
	v_cndmask_b32_e64 v9, 0, 1, s[10:11]                       // 000000004548: D1000009 00290280
	v_cmp_lt_f32_e64 s[10:11], v6, v7                          // 000000004550: D041000A 00020F06
	s_nop 1                                                    // 000000004558: BF800001
	v_cndmask_b32_e64 v11, 0, 1, s[10:11]                      // 00000000455C: D100000B 00290280
	v_cndmask_b32_e64 v9, v11, v9, s[4:5]                      // 000000004564: D1000009 0012130B
	v_and_b32_e32 v9, 1, v9                                    // 00000000456C: 26121281
	v_cmp_eq_u32_e64 s[10:11], 1, v9                           // 000000004570: D0CA000A 00021281
	s_andn2_b64 s[18:19], s[18:19], exec                       // 000000004578: 89927E12
	s_and_b64 s[10:11], s[10:11], exec                         // 00000000457C: 868A7E0A
	s_or_b64 s[18:19], s[18:19], s[10:11]                      // 000000004580: 87920A12
	s_or_b64 exec, exec, s[20:21]                              // 000000004584: 87FE147E
	s_waitcnt lgkmcnt(0)                                       // 000000004588: BF8CC07F
	v_cndmask_b32_e64 v5, v5, v8, s[18:19]                     // 00000000458C: D1000005 004A1105
	v_cndmask_b32_e64 v7, v6, v7, s[18:19]                     // 000000004594: D1000007 004A0F06
	ds_bpermute_b32 v8, v0, v7                                 // 00000000459C: D87E0000 08000700
	ds_bpermute_b32 v6, v0, v5                                 // 0000000045A4: D87E0000 06000500
	s_and_saveexec_b64 s[10:11], s[16:17]                      // 0000000045AC: BE8A2010
	s_xor_b64 s[16:17], exec, s[10:11]                         // 0000000045B0: 88900A7E
	s_cbranch_execz 17                                         // 0000000045B4: BF880011 <_ZN5aiter10DecodeTopKL19topk_per_row_decodeILi1024ELb0ELi4EEEvPKfPKiPiiii+0x29fc>
	s_waitcnt lgkmcnt(1)                                       // 0000000045B8: BF8CC17F
	v_cmp_lt_f32_e64 s[10:11], v7, v8                          // 0000000045BC: D041000A 00021107
	s_nop 1                                                    // 0000000045C4: BF800001
	v_cndmask_b32_e64 v9, 0, 1, s[10:11]                       // 0000000045C8: D1000009 00290280
	v_cmp_gt_f32_e64 s[10:11], v7, v8                          // 0000000045D0: D044000A 00021107
	s_nop 1                                                    // 0000000045D8: BF800001
	v_cndmask_b32_e64 v11, 0, 1, s[10:11]                      // 0000000045DC: D100000B 00290280
	v_cndmask_b32_e64 v9, v11, v9, s[0:1]                      // 0000000045E4: D1000009 0002130B
	v_and_b32_e32 v9, 1, v9                                    // 0000000045EC: 26121281
	v_cmp_eq_u32_e64 s[10:11], 1, v9                           // 0000000045F0: D0CA000A 00021281
	s_and_b64 s[18:19], s[10:11], exec                         // 0000000045F8: 86927E0A
	s_andn2_saveexec_b64 s[16:17], s[16:17]                    // 0000000045FC: BE902310
	s_cbranch_execz 19                                         // 000000004600: BF880013 <_ZN5aiter10DecodeTopKL19topk_per_row_decodeILi1024ELb0ELi4EEEvPKfPKiPiiii+0x2a50>
	s_waitcnt lgkmcnt(1)                                       // 000000004604: BF8CC17F
	v_cmp_gt_f32_e64 s[10:11], v7, v8                          // 000000004608: D044000A 00021107
	s_nop 1                                                    // 000000004610: BF800001
	v_cndmask_b32_e64 v9, 0, 1, s[10:11]                       // 000000004614: D1000009 00290280
	v_cmp_lt_f32_e64 s[10:11], v7, v8                          // 00000000461C: D041000A 00021107
	s_nop 1                                                    // 000000004624: BF800001
	v_cndmask_b32_e64 v11, 0, 1, s[10:11]                      // 000000004628: D100000B 00290280
	v_cndmask_b32_e64 v9, v11, v9, s[0:1]                      // 000000004630: D1000009 0002130B
	v_and_b32_e32 v9, 1, v9                                    // 000000004638: 26121281
	v_cmp_eq_u32_e64 s[10:11], 1, v9                           // 00000000463C: D0CA000A 00021281
	s_andn2_b64 s[18:19], s[18:19], exec                       // 000000004644: 89927E12
	s_and_b64 s[10:11], s[10:11], exec                         // 000000004648: 868A7E0A
	s_or_b64 s[18:19], s[18:19], s[10:11]                      // 00000000464C: 87920A12
	s_or_b64 exec, exec, s[16:17]                              // 000000004650: 87FE107E
	s_waitcnt lgkmcnt(0)                                       // 000000004654: BF8CC07F
	v_cndmask_b32_e64 v6, v5, v6, s[18:19]                     // 000000004658: D1000006 004A0D05
	v_cndmask_b32_e64 v7, v7, v8, s[18:19]                     // 000000004660: D1000007 004A1107
	v_and_b32_e32 v11, 16, v12                                 // 000000004668: 26161890
	v_xor_b32_e32 v14, 8, v2                                   // 00000000466C: 2A1C0488
	v_or_b32_e32 v5, v3, v14                                   // 000000004670: 280A1D03
	v_lshlrev_b32_e32 v5, 2, v5                                // 000000004674: 240A0A82
	ds_bpermute_b32 v8, v5, v7                                 // 000000004678: D87E0000 08000705
	ds_bpermute_b32 v9, v5, v6                                 // 000000004680: D87E0000 09000605
	v_cmp_ne_u32_e64 s[10:11], 0, v11                          // 000000004688: D0CD000A 00021680
	s_xor_b64 s[10:11], s[14:15], s[10:11]                     // 000000004690: 888A0A0E
	s_xor_b64 s[18:19], s[10:11], -1                           // 000000004694: 8892C10A
	v_cmp_lt_u32_e64 s[10:11], v2, v14                         // 000000004698: D0C9000A 00021D02
	s_and_saveexec_b64 s[16:17], s[18:19]                      // 0000000046A0: BE902012
	s_xor_b64 s[22:23], exec, s[16:17]                         // 0000000046A4: 8896107E
	s_cbranch_execz 17                                         // 0000000046A8: BF880011 <_ZN5aiter10DecodeTopKL19topk_per_row_decodeILi1024ELb0ELi4EEEvPKfPKiPiiii+0x2af0>
	s_waitcnt lgkmcnt(1)                                       // 0000000046AC: BF8CC17F
	v_cmp_lt_f32_e64 s[16:17], v7, v8                          // 0000000046B0: D0410010 00021107
	s_nop 1                                                    // 0000000046B8: BF800001
	v_cndmask_b32_e64 v11, 0, 1, s[16:17]                      // 0000000046BC: D100000B 00410280
	v_cmp_gt_f32_e64 s[16:17], v7, v8                          // 0000000046C4: D0440010 00021107
	s_nop 1                                                    // 0000000046CC: BF800001
	v_cndmask_b32_e64 v14, 0, 1, s[16:17]                      // 0000000046D0: D100000E 00410280
	v_cndmask_b32_e64 v11, v14, v11, s[10:11]                  // 0000000046D8: D100000B 002A170E
	v_and_b32_e32 v11, 1, v11                                  // 0000000046E0: 26161681
	v_cmp_eq_u32_e64 s[16:17], 1, v11                          // 0000000046E4: D0CA0010 00021681
	s_and_b64 s[20:21], s[16:17], exec                         // 0000000046EC: 86947E10
	s_andn2_saveexec_b64 s[22:23], s[22:23]                    // 0000000046F0: BE962316
	s_cbranch_execz 19                                         // 0000000046F4: BF880013 <_ZN5aiter10DecodeTopKL19topk_per_row_decodeILi1024ELb0ELi4EEEvPKfPKiPiiii+0x2b44>
	s_waitcnt lgkmcnt(1)                                       // 0000000046F8: BF8CC17F
	v_cmp_gt_f32_e64 s[16:17], v7, v8                          // 0000000046FC: D0440010 00021107
	s_nop 1                                                    // 000000004704: BF800001
	v_cndmask_b32_e64 v11, 0, 1, s[16:17]                      // 000000004708: D100000B 00410280
	v_cmp_lt_f32_e64 s[16:17], v7, v8                          // 000000004710: D0410010 00021107
	s_nop 1                                                    // 000000004718: BF800001
	v_cndmask_b32_e64 v14, 0, 1, s[16:17]                      // 00000000471C: D100000E 00410280
	v_cndmask_b32_e64 v11, v14, v11, s[10:11]                  // 000000004724: D100000B 002A170E
	v_and_b32_e32 v11, 1, v11                                  // 00000000472C: 26161681
	v_cmp_eq_u32_e64 s[16:17], 1, v11                          // 000000004730: D0CA0010 00021681
	s_andn2_b64 s[20:21], s[20:21], exec                       // 000000004738: 89947E14
	s_and_b64 s[16:17], s[16:17], exec                         // 00000000473C: 86907E10
	s_or_b64 s[20:21], s[20:21], s[16:17]                      // 000000004740: 87941014
	s_or_b64 exec, exec, s[22:23]                              // 000000004744: 87FE167E
	s_waitcnt lgkmcnt(0)                                       // 000000004748: BF8CC07F
	v_cndmask_b32_e64 v6, v6, v9, s[20:21]                     // 00000000474C: D1000006 00521306
	v_cndmask_b32_e64 v7, v7, v8, s[20:21]                     // 000000004754: D1000007 00521107
	ds_bpermute_b32 v8, v4, v7                                 // 00000000475C: D87E0000 08000704
	ds_bpermute_b32 v9, v4, v6                                 // 000000004764: D87E0000 09000604
	s_and_saveexec_b64 s[16:17], s[18:19]                      // 00000000476C: BE902012
	s_xor_b64 s[22:23], exec, s[16:17]                         // 000000004770: 8896107E
	s_cbranch_execz 17                                         // 000000004774: BF880011 <_ZN5aiter10DecodeTopKL19topk_per_row_decodeILi1024ELb0ELi4EEEvPKfPKiPiiii+0x2bbc>
	s_waitcnt lgkmcnt(1)                                       // 000000004778: BF8CC17F
	v_cmp_lt_f32_e64 s[16:17], v7, v8                          // 00000000477C: D0410010 00021107
	s_nop 1                                                    // 000000004784: BF800001
	v_cndmask_b32_e64 v11, 0, 1, s[16:17]                      // 000000004788: D100000B 00410280
	v_cmp_gt_f32_e64 s[16:17], v7, v8                          // 000000004790: D0440010 00021107
	s_nop 1                                                    // 000000004798: BF800001
	v_cndmask_b32_e64 v14, 0, 1, s[16:17]                      // 00000000479C: D100000E 00410280
	v_cndmask_b32_e64 v11, v14, v11, s[6:7]                    // 0000000047A4: D100000B 001A170E
	v_and_b32_e32 v11, 1, v11                                  // 0000000047AC: 26161681
	v_cmp_eq_u32_e64 s[16:17], 1, v11                          // 0000000047B0: D0CA0010 00021681
	s_and_b64 s[20:21], s[16:17], exec                         // 0000000047B8: 86947E10
	s_andn2_saveexec_b64 s[22:23], s[22:23]                    // 0000000047BC: BE962316
	s_cbranch_execz 19                                         // 0000000047C0: BF880013 <_ZN5aiter10DecodeTopKL19topk_per_row_decodeILi1024ELb0ELi4EEEvPKfPKiPiiii+0x2c10>
	s_waitcnt lgkmcnt(1)                                       // 0000000047C4: BF8CC17F
	v_cmp_gt_f32_e64 s[16:17], v7, v8                          // 0000000047C8: D0440010 00021107
	s_nop 1                                                    // 0000000047D0: BF800001
	v_cndmask_b32_e64 v11, 0, 1, s[16:17]                      // 0000000047D4: D100000B 00410280
	v_cmp_lt_f32_e64 s[16:17], v7, v8                          // 0000000047DC: D0410010 00021107
	s_nop 1                                                    // 0000000047E4: BF800001
	v_cndmask_b32_e64 v14, 0, 1, s[16:17]                      // 0000000047E8: D100000E 00410280
	v_cndmask_b32_e64 v11, v14, v11, s[6:7]                    // 0000000047F0: D100000B 001A170E
	v_and_b32_e32 v11, 1, v11                                  // 0000000047F8: 26161681
	v_cmp_eq_u32_e64 s[16:17], 1, v11                          // 0000000047FC: D0CA0010 00021681
	s_andn2_b64 s[20:21], s[20:21], exec                       // 000000004804: 89947E14
	s_and_b64 s[16:17], s[16:17], exec                         // 000000004808: 86907E10
	s_or_b64 s[20:21], s[20:21], s[16:17]                      // 00000000480C: 87941014
	s_or_b64 exec, exec, s[22:23]                              // 000000004810: 87FE167E
	s_waitcnt lgkmcnt(0)                                       // 000000004814: BF8CC07F
	v_cndmask_b32_e64 v6, v6, v9, s[20:21]                     // 000000004818: D1000006 00521306
	v_cndmask_b32_e64 v7, v7, v8, s[20:21]                     // 000000004820: D1000007 00521107
	ds_bpermute_b32 v8, v1, v7                                 // 000000004828: D87E0000 08000701
	ds_bpermute_b32 v9, v1, v6                                 // 000000004830: D87E0000 09000601
	s_and_saveexec_b64 s[16:17], s[18:19]                      // 000000004838: BE902012
	s_xor_b64 s[22:23], exec, s[16:17]                         // 00000000483C: 8896107E
	s_cbranch_execz 17                                         // 000000004840: BF880011 <_ZN5aiter10DecodeTopKL19topk_per_row_decodeILi1024ELb0ELi4EEEvPKfPKiPiiii+0x2c88>
	s_waitcnt lgkmcnt(1)                                       // 000000004844: BF8CC17F
	v_cmp_lt_f32_e64 s[16:17], v7, v8                          // 000000004848: D0410010 00021107
	s_nop 1                                                    // 000000004850: BF800001
	v_cndmask_b32_e64 v11, 0, 1, s[16:17]                      // 000000004854: D100000B 00410280
	v_cmp_gt_f32_e64 s[16:17], v7, v8                          // 00000000485C: D0440010 00021107
	s_nop 1                                                    // 000000004864: BF800001
	v_cndmask_b32_e64 v14, 0, 1, s[16:17]                      // 000000004868: D100000E 00410280
	v_cndmask_b32_e64 v11, v14, v11, s[4:5]                    // 000000004870: D100000B 0012170E
	v_and_b32_e32 v11, 1, v11                                  // 000000004878: 26161681
	v_cmp_eq_u32_e64 s[16:17], 1, v11                          // 00000000487C: D0CA0010 00021681
	s_and_b64 s[20:21], s[16:17], exec                         // 000000004884: 86947E10
	s_andn2_saveexec_b64 s[22:23], s[22:23]                    // 000000004888: BE962316
	s_cbranch_execz 19                                         // 00000000488C: BF880013 <_ZN5aiter10DecodeTopKL19topk_per_row_decodeILi1024ELb0ELi4EEEvPKfPKiPiiii+0x2cdc>
	s_waitcnt lgkmcnt(1)                                       // 000000004890: BF8CC17F
	v_cmp_gt_f32_e64 s[16:17], v7, v8                          // 000000004894: D0440010 00021107
	s_nop 1                                                    // 00000000489C: BF800001
	v_cndmask_b32_e64 v11, 0, 1, s[16:17]                      // 0000000048A0: D100000B 00410280
	v_cmp_lt_f32_e64 s[16:17], v7, v8                          // 0000000048A8: D0410010 00021107
	s_nop 1                                                    // 0000000048B0: BF800001
	v_cndmask_b32_e64 v14, 0, 1, s[16:17]                      // 0000000048B4: D100000E 00410280
	v_cndmask_b32_e64 v11, v14, v11, s[4:5]                    // 0000000048BC: D100000B 0012170E
	v_and_b32_e32 v11, 1, v11                                  // 0000000048C4: 26161681
	v_cmp_eq_u32_e64 s[16:17], 1, v11                          // 0000000048C8: D0CA0010 00021681
	s_andn2_b64 s[20:21], s[20:21], exec                       // 0000000048D0: 89947E14
	s_and_b64 s[16:17], s[16:17], exec                         // 0000000048D4: 86907E10
	s_or_b64 s[20:21], s[20:21], s[16:17]                      // 0000000048D8: 87941014
	s_or_b64 exec, exec, s[22:23]                              // 0000000048DC: 87FE167E
	s_waitcnt lgkmcnt(0)                                       // 0000000048E0: BF8CC07F
	v_cndmask_b32_e64 v6, v6, v9, s[20:21]                     // 0000000048E4: D1000006 00521306
	v_cndmask_b32_e64 v8, v7, v8, s[20:21]                     // 0000000048EC: D1000008 00521107
	ds_bpermute_b32 v9, v0, v8                                 // 0000000048F4: D87E0000 09000800
	ds_bpermute_b32 v7, v0, v6                                 // 0000000048FC: D87E0000 07000600
	s_and_saveexec_b64 s[16:17], s[18:19]                      // 000000004904: BE902012
	s_xor_b64 s[18:19], exec, s[16:17]                         // 000000004908: 8892107E
	s_cbranch_execz 17                                         // 00000000490C: BF880011 <_ZN5aiter10DecodeTopKL19topk_per_row_decodeILi1024ELb0ELi4EEEvPKfPKiPiiii+0x2d54>
	s_waitcnt lgkmcnt(1)                                       // 000000004910: BF8CC17F
	v_cmp_lt_f32_e64 s[16:17], v8, v9                          // 000000004914: D0410010 00021308
	s_nop 1                                                    // 00000000491C: BF800001
	v_cndmask_b32_e64 v11, 0, 1, s[16:17]                      // 000000004920: D100000B 00410280
	v_cmp_gt_f32_e64 s[16:17], v8, v9                          // 000000004928: D0440010 00021308
	s_nop 1                                                    // 000000004930: BF800001
	v_cndmask_b32_e64 v14, 0, 1, s[16:17]                      // 000000004934: D100000E 00410280
	v_cndmask_b32_e64 v11, v14, v11, s[0:1]                    // 00000000493C: D100000B 0002170E
	v_and_b32_e32 v11, 1, v11                                  // 000000004944: 26161681
	v_cmp_eq_u32_e64 s[16:17], 1, v11                          // 000000004948: D0CA0010 00021681
	s_and_b64 s[20:21], s[16:17], exec                         // 000000004950: 86947E10
	s_andn2_saveexec_b64 s[18:19], s[18:19]                    // 000000004954: BE922312
	s_cbranch_execz 19                                         // 000000004958: BF880013 <_ZN5aiter10DecodeTopKL19topk_per_row_decodeILi1024ELb0ELi4EEEvPKfPKiPiiii+0x2da8>
	s_waitcnt lgkmcnt(1)                                       // 00000000495C: BF8CC17F
	v_cmp_gt_f32_e64 s[16:17], v8, v9                          // 000000004960: D0440010 00021308
	s_nop 1                                                    // 000000004968: BF800001
	v_cndmask_b32_e64 v11, 0, 1, s[16:17]                      // 00000000496C: D100000B 00410280
	v_cmp_lt_f32_e64 s[16:17], v8, v9                          // 000000004974: D0410010 00021308
	s_nop 1                                                    // 00000000497C: BF800001
	v_cndmask_b32_e64 v14, 0, 1, s[16:17]                      // 000000004980: D100000E 00410280
	v_cndmask_b32_e64 v11, v14, v11, s[0:1]                    // 000000004988: D100000B 0002170E
	v_and_b32_e32 v11, 1, v11                                  // 000000004990: 26161681
	v_cmp_eq_u32_e64 s[16:17], 1, v11                          // 000000004994: D0CA0010 00021681
	s_andn2_b64 s[20:21], s[20:21], exec                       // 00000000499C: 89947E14
	s_and_b64 s[16:17], s[16:17], exec                         // 0000000049A0: 86907E10
	s_or_b64 s[20:21], s[20:21], s[16:17]                      // 0000000049A4: 87941014
	s_or_b64 exec, exec, s[18:19]                              // 0000000049A8: 87FE127E
	s_waitcnt lgkmcnt(0)                                       // 0000000049AC: BF8CC07F
	v_cndmask_b32_e64 v7, v6, v7, s[20:21]                     // 0000000049B0: D1000007 00520F06
	v_cndmask_b32_e64 v8, v8, v9, s[20:21]                     // 0000000049B8: D1000008 00521308
	v_and_b32_e32 v14, 32, v12                                 // 0000000049C0: 261C18A0
	v_xor_b32_e32 v15, 16, v2                                  // 0000000049C4: 2A1E0490
	v_or_b32_e32 v6, v3, v15                                   // 0000000049C8: 280C1F03
	v_lshlrev_b32_e32 v6, 2, v6                                // 0000000049CC: 240C0C82
	ds_bpermute_b32 v9, v6, v8                                 // 0000000049D0: D87E0000 09000806
	ds_bpermute_b32 v11, v6, v7                                // 0000000049D8: D87E0000 0B000706
	v_cmp_ne_u32_e64 s[16:17], 0, v14                          // 0000000049E0: D0CD0010 00021C80
	s_xor_b64 s[14:15], s[14:15], s[16:17]                     // 0000000049E8: 888E100E
	s_xor_b64 s[18:19], s[14:15], -1                           // 0000000049EC: 8892C10E
	v_cmp_lt_u32_e64 s[16:17], v2, v15                         // 0000000049F0: D0C90010 00021F02
	s_and_saveexec_b64 s[14:15], s[18:19]                      // 0000000049F8: BE8E2012
	s_xor_b64 s[22:23], exec, s[14:15]                         // 0000000049FC: 88960E7E
	s_cbranch_execz 17                                         // 000000004A00: BF880011 <_ZN5aiter10DecodeTopKL19topk_per_row_decodeILi1024ELb0ELi4EEEvPKfPKiPiiii+0x2e48>
	s_waitcnt lgkmcnt(1)                                       // 000000004A04: BF8CC17F
	v_cmp_lt_f32_e64 s[14:15], v8, v9                          // 000000004A08: D041000E 00021308
	s_nop 1                                                    // 000000004A10: BF800001
	v_cndmask_b32_e64 v14, 0, 1, s[14:15]                      // 000000004A14: D100000E 00390280
	v_cmp_gt_f32_e64 s[14:15], v8, v9                          // 000000004A1C: D044000E 00021308
	s_nop 1                                                    // 000000004A24: BF800001
	v_cndmask_b32_e64 v15, 0, 1, s[14:15]                      // 000000004A28: D100000F 00390280
	v_cndmask_b32_e64 v14, v15, v14, s[16:17]                  // 000000004A30: D100000E 00421D0F
	v_and_b32_e32 v14, 1, v14                                  // 000000004A38: 261C1C81
	v_cmp_eq_u32_e64 s[14:15], 1, v14                          // 000000004A3C: D0CA000E 00021C81
	s_and_b64 s[20:21], s[14:15], exec                         // 000000004A44: 86947E0E
	s_andn2_saveexec_b64 s[22:23], s[22:23]                    // 000000004A48: BE962316
	s_cbranch_execz 19                                         // 000000004A4C: BF880013 <_ZN5aiter10DecodeTopKL19topk_per_row_decodeILi1024ELb0ELi4EEEvPKfPKiPiiii+0x2e9c>
	s_waitcnt lgkmcnt(1)                                       // 000000004A50: BF8CC17F
	v_cmp_gt_f32_e64 s[14:15], v8, v9                          // 000000004A54: D044000E 00021308
	s_nop 1                                                    // 000000004A5C: BF800001
	v_cndmask_b32_e64 v14, 0, 1, s[14:15]                      // 000000004A60: D100000E 00390280
	v_cmp_lt_f32_e64 s[14:15], v8, v9                          // 000000004A68: D041000E 00021308
	s_nop 1                                                    // 000000004A70: BF800001
	v_cndmask_b32_e64 v15, 0, 1, s[14:15]                      // 000000004A74: D100000F 00390280
	v_cndmask_b32_e64 v14, v15, v14, s[16:17]                  // 000000004A7C: D100000E 00421D0F
	v_and_b32_e32 v14, 1, v14                                  // 000000004A84: 261C1C81
	v_cmp_eq_u32_e64 s[14:15], 1, v14                          // 000000004A88: D0CA000E 00021C81
	s_andn2_b64 s[20:21], s[20:21], exec                       // 000000004A90: 89947E14
	s_and_b64 s[14:15], s[14:15], exec                         // 000000004A94: 868E7E0E
	s_or_b64 s[20:21], s[20:21], s[14:15]                      // 000000004A98: 87940E14
	s_or_b64 exec, exec, s[22:23]                              // 000000004A9C: 87FE167E
	s_waitcnt lgkmcnt(0)                                       // 000000004AA0: BF8CC07F
	v_cndmask_b32_e64 v7, v7, v11, s[20:21]                    // 000000004AA4: D1000007 00521707
	v_cndmask_b32_e64 v8, v8, v9, s[20:21]                     // 000000004AAC: D1000008 00521308
	ds_bpermute_b32 v9, v5, v8                                 // 000000004AB4: D87E0000 09000805
	ds_bpermute_b32 v11, v5, v7                                // 000000004ABC: D87E0000 0B000705
	s_and_saveexec_b64 s[14:15], s[18:19]                      // 000000004AC4: BE8E2012
	s_xor_b64 s[22:23], exec, s[14:15]                         // 000000004AC8: 88960E7E
	s_cbranch_execz 17                                         // 000000004ACC: BF880011 <_ZN5aiter10DecodeTopKL19topk_per_row_decodeILi1024ELb0ELi4EEEvPKfPKiPiiii+0x2f14>
	s_waitcnt lgkmcnt(1)                                       // 000000004AD0: BF8CC17F
	v_cmp_lt_f32_e64 s[14:15], v8, v9                          // 000000004AD4: D041000E 00021308
	s_nop 1                                                    // 000000004ADC: BF800001
	v_cndmask_b32_e64 v14, 0, 1, s[14:15]                      // 000000004AE0: D100000E 00390280
	v_cmp_gt_f32_e64 s[14:15], v8, v9                          // 000000004AE8: D044000E 00021308
	s_nop 1                                                    // 000000004AF0: BF800001
	v_cndmask_b32_e64 v15, 0, 1, s[14:15]                      // 000000004AF4: D100000F 00390280
	v_cndmask_b32_e64 v14, v15, v14, s[10:11]                  // 000000004AFC: D100000E 002A1D0F
	v_and_b32_e32 v14, 1, v14                                  // 000000004B04: 261C1C81
	v_cmp_eq_u32_e64 s[14:15], 1, v14                          // 000000004B08: D0CA000E 00021C81
	s_and_b64 s[20:21], s[14:15], exec                         // 000000004B10: 86947E0E
	s_andn2_saveexec_b64 s[22:23], s[22:23]                    // 000000004B14: BE962316
	s_cbranch_execz 19                                         // 000000004B18: BF880013 <_ZN5aiter10DecodeTopKL19topk_per_row_decodeILi1024ELb0ELi4EEEvPKfPKiPiiii+0x2f68>
	s_waitcnt lgkmcnt(1)                                       // 000000004B1C: BF8CC17F
	v_cmp_gt_f32_e64 s[14:15], v8, v9                          // 000000004B20: D044000E 00021308
	s_nop 1                                                    // 000000004B28: BF800001
	v_cndmask_b32_e64 v14, 0, 1, s[14:15]                      // 000000004B2C: D100000E 00390280
	v_cmp_lt_f32_e64 s[14:15], v8, v9                          // 000000004B34: D041000E 00021308
	s_nop 1                                                    // 000000004B3C: BF800001
	v_cndmask_b32_e64 v15, 0, 1, s[14:15]                      // 000000004B40: D100000F 00390280
	v_cndmask_b32_e64 v14, v15, v14, s[10:11]                  // 000000004B48: D100000E 002A1D0F
	v_and_b32_e32 v14, 1, v14                                  // 000000004B50: 261C1C81
	v_cmp_eq_u32_e64 s[14:15], 1, v14                          // 000000004B54: D0CA000E 00021C81
	s_andn2_b64 s[20:21], s[20:21], exec                       // 000000004B5C: 89947E14
	s_and_b64 s[14:15], s[14:15], exec                         // 000000004B60: 868E7E0E
	s_or_b64 s[20:21], s[20:21], s[14:15]                      // 000000004B64: 87940E14
	s_or_b64 exec, exec, s[22:23]                              // 000000004B68: 87FE167E
	s_waitcnt lgkmcnt(0)                                       // 000000004B6C: BF8CC07F
	v_cndmask_b32_e64 v7, v7, v11, s[20:21]                    // 000000004B70: D1000007 00521707
	v_cndmask_b32_e64 v8, v8, v9, s[20:21]                     // 000000004B78: D1000008 00521308
	ds_bpermute_b32 v9, v4, v8                                 // 000000004B80: D87E0000 09000804
	ds_bpermute_b32 v11, v4, v7                                // 000000004B88: D87E0000 0B000704
	s_and_saveexec_b64 s[14:15], s[18:19]                      // 000000004B90: BE8E2012
	s_xor_b64 s[22:23], exec, s[14:15]                         // 000000004B94: 88960E7E
	s_cbranch_execz 17                                         // 000000004B98: BF880011 <_ZN5aiter10DecodeTopKL19topk_per_row_decodeILi1024ELb0ELi4EEEvPKfPKiPiiii+0x2fe0>
	s_waitcnt lgkmcnt(1)                                       // 000000004B9C: BF8CC17F
	v_cmp_lt_f32_e64 s[14:15], v8, v9                          // 000000004BA0: D041000E 00021308
	s_nop 1                                                    // 000000004BA8: BF800001
	v_cndmask_b32_e64 v14, 0, 1, s[14:15]                      // 000000004BAC: D100000E 00390280
	v_cmp_gt_f32_e64 s[14:15], v8, v9                          // 000000004BB4: D044000E 00021308
	s_nop 1                                                    // 000000004BBC: BF800001
	v_cndmask_b32_e64 v15, 0, 1, s[14:15]                      // 000000004BC0: D100000F 00390280
	v_cndmask_b32_e64 v14, v15, v14, s[6:7]                    // 000000004BC8: D100000E 001A1D0F
	v_and_b32_e32 v14, 1, v14                                  // 000000004BD0: 261C1C81
	v_cmp_eq_u32_e64 s[14:15], 1, v14                          // 000000004BD4: D0CA000E 00021C81
	s_and_b64 s[20:21], s[14:15], exec                         // 000000004BDC: 86947E0E
	s_andn2_saveexec_b64 s[22:23], s[22:23]                    // 000000004BE0: BE962316
	s_cbranch_execz 19                                         // 000000004BE4: BF880013 <_ZN5aiter10DecodeTopKL19topk_per_row_decodeILi1024ELb0ELi4EEEvPKfPKiPiiii+0x3034>
	s_waitcnt lgkmcnt(1)                                       // 000000004BE8: BF8CC17F
	v_cmp_gt_f32_e64 s[14:15], v8, v9                          // 000000004BEC: D044000E 00021308
	s_nop 1                                                    // 000000004BF4: BF800001
	v_cndmask_b32_e64 v14, 0, 1, s[14:15]                      // 000000004BF8: D100000E 00390280
	v_cmp_lt_f32_e64 s[14:15], v8, v9                          // 000000004C00: D041000E 00021308
	s_nop 1                                                    // 000000004C08: BF800001
	v_cndmask_b32_e64 v15, 0, 1, s[14:15]                      // 000000004C0C: D100000F 00390280
	v_cndmask_b32_e64 v14, v15, v14, s[6:7]                    // 000000004C14: D100000E 001A1D0F
	v_and_b32_e32 v14, 1, v14                                  // 000000004C1C: 261C1C81
	v_cmp_eq_u32_e64 s[14:15], 1, v14                          // 000000004C20: D0CA000E 00021C81
	s_andn2_b64 s[20:21], s[20:21], exec                       // 000000004C28: 89947E14
	s_and_b64 s[14:15], s[14:15], exec                         // 000000004C2C: 868E7E0E
	s_or_b64 s[20:21], s[20:21], s[14:15]                      // 000000004C30: 87940E14
	s_or_b64 exec, exec, s[22:23]                              // 000000004C34: 87FE167E
	s_waitcnt lgkmcnt(0)                                       // 000000004C38: BF8CC07F
	v_cndmask_b32_e64 v7, v7, v11, s[20:21]                    // 000000004C3C: D1000007 00521707
	v_cndmask_b32_e64 v8, v8, v9, s[20:21]                     // 000000004C44: D1000008 00521308
	ds_bpermute_b32 v9, v1, v8                                 // 000000004C4C: D87E0000 09000801
	ds_bpermute_b32 v11, v1, v7                                // 000000004C54: D87E0000 0B000701
	s_and_saveexec_b64 s[14:15], s[18:19]                      // 000000004C5C: BE8E2012
	s_xor_b64 s[22:23], exec, s[14:15]                         // 000000004C60: 88960E7E
	s_cbranch_execz 17                                         // 000000004C64: BF880011 <_ZN5aiter10DecodeTopKL19topk_per_row_decodeILi1024ELb0ELi4EEEvPKfPKiPiiii+0x30ac>
	s_waitcnt lgkmcnt(1)                                       // 000000004C68: BF8CC17F
	v_cmp_lt_f32_e64 s[14:15], v8, v9                          // 000000004C6C: D041000E 00021308
	s_nop 1                                                    // 000000004C74: BF800001
	v_cndmask_b32_e64 v14, 0, 1, s[14:15]                      // 000000004C78: D100000E 00390280
	v_cmp_gt_f32_e64 s[14:15], v8, v9                          // 000000004C80: D044000E 00021308
	s_nop 1                                                    // 000000004C88: BF800001
	v_cndmask_b32_e64 v15, 0, 1, s[14:15]                      // 000000004C8C: D100000F 00390280
	v_cndmask_b32_e64 v14, v15, v14, s[4:5]                    // 000000004C94: D100000E 00121D0F
	v_and_b32_e32 v14, 1, v14                                  // 000000004C9C: 261C1C81
	v_cmp_eq_u32_e64 s[14:15], 1, v14                          // 000000004CA0: D0CA000E 00021C81
	s_and_b64 s[20:21], s[14:15], exec                         // 000000004CA8: 86947E0E
	s_andn2_saveexec_b64 s[22:23], s[22:23]                    // 000000004CAC: BE962316
	s_cbranch_execz 19                                         // 000000004CB0: BF880013 <_ZN5aiter10DecodeTopKL19topk_per_row_decodeILi1024ELb0ELi4EEEvPKfPKiPiiii+0x3100>
	s_waitcnt lgkmcnt(1)                                       // 000000004CB4: BF8CC17F
	v_cmp_gt_f32_e64 s[14:15], v8, v9                          // 000000004CB8: D044000E 00021308
	s_nop 1                                                    // 000000004CC0: BF800001
	v_cndmask_b32_e64 v14, 0, 1, s[14:15]                      // 000000004CC4: D100000E 00390280
	v_cmp_lt_f32_e64 s[14:15], v8, v9                          // 000000004CCC: D041000E 00021308
	s_nop 1                                                    // 000000004CD4: BF800001
	v_cndmask_b32_e64 v15, 0, 1, s[14:15]                      // 000000004CD8: D100000F 00390280
	v_cndmask_b32_e64 v14, v15, v14, s[4:5]                    // 000000004CE0: D100000E 00121D0F
	v_and_b32_e32 v14, 1, v14                                  // 000000004CE8: 261C1C81
	v_cmp_eq_u32_e64 s[14:15], 1, v14                          // 000000004CEC: D0CA000E 00021C81
	s_andn2_b64 s[20:21], s[20:21], exec                       // 000000004CF4: 89947E14
	s_and_b64 s[14:15], s[14:15], exec                         // 000000004CF8: 868E7E0E
	s_or_b64 s[20:21], s[20:21], s[14:15]                      // 000000004CFC: 87940E14
	s_or_b64 exec, exec, s[22:23]                              // 000000004D00: 87FE167E
	s_waitcnt lgkmcnt(0)                                       // 000000004D04: BF8CC07F
	v_cndmask_b32_e64 v7, v7, v11, s[20:21]                    // 000000004D08: D1000007 00521707
	v_cndmask_b32_e64 v8, v8, v9, s[20:21]                     // 000000004D10: D1000008 00521308
	ds_bpermute_b32 v9, v0, v8                                 // 000000004D18: D87E0000 09000800
	ds_bpermute_b32 v11, v0, v7                                // 000000004D20: D87E0000 0B000700
	s_and_saveexec_b64 s[14:15], s[18:19]                      // 000000004D28: BE8E2012
	s_xor_b64 s[18:19], exec, s[14:15]                         // 000000004D2C: 88920E7E
	s_cbranch_execz 17                                         // 000000004D30: BF880011 <_ZN5aiter10DecodeTopKL19topk_per_row_decodeILi1024ELb0ELi4EEEvPKfPKiPiiii+0x3178>
	s_waitcnt lgkmcnt(1)                                       // 000000004D34: BF8CC17F
	v_cmp_lt_f32_e64 s[14:15], v8, v9                          // 000000004D38: D041000E 00021308
	s_nop 1                                                    // 000000004D40: BF800001
	v_cndmask_b32_e64 v14, 0, 1, s[14:15]                      // 000000004D44: D100000E 00390280
	v_cmp_gt_f32_e64 s[14:15], v8, v9                          // 000000004D4C: D044000E 00021308
	s_nop 1                                                    // 000000004D54: BF800001
	v_cndmask_b32_e64 v15, 0, 1, s[14:15]                      // 000000004D58: D100000F 00390280
	v_cndmask_b32_e64 v14, v15, v14, s[0:1]                    // 000000004D60: D100000E 00021D0F
	v_and_b32_e32 v14, 1, v14                                  // 000000004D68: 261C1C81
	v_cmp_eq_u32_e64 s[14:15], 1, v14                          // 000000004D6C: D0CA000E 00021C81
	s_and_b64 s[20:21], s[14:15], exec                         // 000000004D74: 86947E0E
	s_andn2_saveexec_b64 s[18:19], s[18:19]                    // 000000004D78: BE922312
	s_cbranch_execz 19                                         // 000000004D7C: BF880013 <_ZN5aiter10DecodeTopKL19topk_per_row_decodeILi1024ELb0ELi4EEEvPKfPKiPiiii+0x31cc>
	s_waitcnt lgkmcnt(1)                                       // 000000004D80: BF8CC17F
	v_cmp_gt_f32_e64 s[14:15], v8, v9                          // 000000004D84: D044000E 00021308
	s_nop 1                                                    // 000000004D8C: BF800001
	v_cndmask_b32_e64 v14, 0, 1, s[14:15]                      // 000000004D90: D100000E 00390280
	v_cmp_lt_f32_e64 s[14:15], v8, v9                          // 000000004D98: D041000E 00021308
	s_nop 1                                                    // 000000004DA0: BF800001
	v_cndmask_b32_e64 v15, 0, 1, s[14:15]                      // 000000004DA4: D100000F 00390280
	v_cndmask_b32_e64 v14, v15, v14, s[0:1]                    // 000000004DAC: D100000E 00021D0F
	v_and_b32_e32 v14, 1, v14                                  // 000000004DB4: 261C1C81
	v_cmp_eq_u32_e64 s[14:15], 1, v14                          // 000000004DB8: D0CA000E 00021C81
	s_andn2_b64 s[20:21], s[20:21], exec                       // 000000004DC0: 89947E14
	s_and_b64 s[14:15], s[14:15], exec                         // 000000004DC4: 868E7E0E
	s_or_b64 s[20:21], s[20:21], s[14:15]                      // 000000004DC8: 87940E14
	s_or_b64 exec, exec, s[18:19]                              // 000000004DCC: 87FE127E
	s_waitcnt lgkmcnt(0)                                       // 000000004DD0: BF8CC07F
	v_cndmask_b32_e64 v7, v7, v11, s[20:21]                    // 000000004DD4: D1000007 00521707
	v_cndmask_b32_e64 v8, v8, v9, s[20:21]                     // 000000004DDC: D1000008 00521308
	v_xor_b32_e32 v11, 32, v2                                  // 000000004DE4: 2A1604A0
	v_or_b32_e32 v3, v3, v11                                   // 000000004DE8: 28061703
	v_lshlrev_b32_e32 v9, 2, v3                                // 000000004DEC: 24120682
	ds_bpermute_b32 v3, v9, v8                                 // 000000004DF0: D87E0000 03000809
	ds_bpermute_b32 v9, v9, v7                                 // 000000004DF8: D87E0000 09000709
	v_cmp_lt_u32_e64 s[14:15], v2, v11                         // 000000004E00: D0C9000E 00021702
	s_and_saveexec_b64 s[18:19], s[2:3]                        // 000000004E08: BE922002
	s_xor_b64 s[22:23], exec, s[18:19]                         // 000000004E0C: 8896127E
	s_cbranch_execz 17                                         // 000000004E10: BF880011 <_ZN5aiter10DecodeTopKL19topk_per_row_decodeILi1024ELb0ELi4EEEvPKfPKiPiiii+0x3258>
	s_waitcnt lgkmcnt(1)                                       // 000000004E14: BF8CC17F
	v_cmp_lt_f32_e64 s[18:19], v8, v3                          // 000000004E18: D0410012 00020708
	s_nop 1                                                    // 000000004E20: BF800001
	v_cndmask_b32_e64 v2, 0, 1, s[18:19]                       // 000000004E24: D1000002 00490280
	v_cmp_gt_f32_e64 s[18:19], v8, v3                          // 000000004E2C: D0440012 00020708
	s_nop 1                                                    // 000000004E34: BF800001
	v_cndmask_b32_e64 v11, 0, 1, s[18:19]                      // 000000004E38: D100000B 00490280
	v_cndmask_b32_e64 v2, v11, v2, s[14:15]                    // 000000004E40: D1000002 003A050B
	v_and_b32_e32 v2, 1, v2                                    // 000000004E48: 26040481
	v_cmp_eq_u32_e64 s[18:19], 1, v2                           // 000000004E4C: D0CA0012 00020481
	s_and_b64 s[20:21], s[18:19], exec                         // 000000004E54: 86947E12
	s_andn2_saveexec_b64 s[22:23], s[22:23]                    // 000000004E58: BE962316
	s_cbranch_execz 19                                         // 000000004E5C: BF880013 <_ZN5aiter10DecodeTopKL19topk_per_row_decodeILi1024ELb0ELi4EEEvPKfPKiPiiii+0x32ac>
	s_waitcnt lgkmcnt(1)                                       // 000000004E60: BF8CC17F
	v_cmp_gt_f32_e64 s[18:19], v8, v3                          // 000000004E64: D0440012 00020708
	s_nop 1                                                    // 000000004E6C: BF800001
	v_cndmask_b32_e64 v2, 0, 1, s[18:19]                       // 000000004E70: D1000002 00490280
	v_cmp_lt_f32_e64 s[18:19], v8, v3                          // 000000004E78: D0410012 00020708
	s_nop 1                                                    // 000000004E80: BF800001
	v_cndmask_b32_e64 v11, 0, 1, s[18:19]                      // 000000004E84: D100000B 00490280
	v_cndmask_b32_e64 v2, v11, v2, s[14:15]                    // 000000004E8C: D1000002 003A050B
	v_and_b32_e32 v2, 1, v2                                    // 000000004E94: 26040481
	v_cmp_eq_u32_e64 s[14:15], 1, v2                           // 000000004E98: D0CA000E 00020481
	s_andn2_b64 s[18:19], s[20:21], exec                       // 000000004EA0: 89927E14
	s_and_b64 s[14:15], s[14:15], exec                         // 000000004EA4: 868E7E0E
	s_or_b64 s[20:21], s[18:19], s[14:15]                      // 000000004EA8: 87940E12
	s_or_b64 exec, exec, s[22:23]                              // 000000004EAC: 87FE167E
	s_waitcnt lgkmcnt(0)                                       // 000000004EB0: BF8CC07F
	v_cndmask_b32_e64 v2, v7, v9, s[20:21]                     // 000000004EB4: D1000002 00521307
	v_cndmask_b32_e64 v3, v8, v3, s[20:21]                     // 000000004EBC: D1000003 00520708
	ds_bpermute_b32 v7, v6, v3                                 // 000000004EC4: D87E0000 07000306
	ds_bpermute_b32 v6, v6, v2                                 // 000000004ECC: D87E0000 06000206
	s_and_saveexec_b64 s[14:15], s[2:3]                        // 000000004ED4: BE8E2002
	s_xor_b64 s[20:21], exec, s[14:15]                         // 000000004ED8: 88940E7E
	s_cbranch_execz 17                                         // 000000004EDC: BF880011 <_ZN5aiter10DecodeTopKL19topk_per_row_decodeILi1024ELb0ELi4EEEvPKfPKiPiiii+0x3324>
	s_waitcnt lgkmcnt(1)                                       // 000000004EE0: BF8CC17F
	v_cmp_lt_f32_e64 s[14:15], v3, v7                          // 000000004EE4: D041000E 00020F03
	s_nop 1                                                    // 000000004EEC: BF800001
	v_cndmask_b32_e64 v8, 0, 1, s[14:15]                       // 000000004EF0: D1000008 00390280
	v_cmp_gt_f32_e64 s[14:15], v3, v7                          // 000000004EF8: D044000E 00020F03
	s_nop 1                                                    // 000000004F00: BF800001
	v_cndmask_b32_e64 v9, 0, 1, s[14:15]                       // 000000004F04: D1000009 00390280
	v_cndmask_b32_e64 v8, v9, v8, s[16:17]                     // 000000004F0C: D1000008 00421109
	v_and_b32_e32 v8, 1, v8                                    // 000000004F14: 26101081
	v_cmp_eq_u32_e64 s[14:15], 1, v8                           // 000000004F18: D0CA000E 00021081
	s_and_b64 s[18:19], s[14:15], exec                         // 000000004F20: 86927E0E
	s_andn2_saveexec_b64 s[20:21], s[20:21]                    // 000000004F24: BE942314
	s_cbranch_execz 19                                         // 000000004F28: BF880013 <_ZN5aiter10DecodeTopKL19topk_per_row_decodeILi1024ELb0ELi4EEEvPKfPKiPiiii+0x3378>
	s_waitcnt lgkmcnt(1)                                       // 000000004F2C: BF8CC17F
	v_cmp_gt_f32_e64 s[14:15], v3, v7                          // 000000004F30: D044000E 00020F03
	s_nop 1                                                    // 000000004F38: BF800001
	v_cndmask_b32_e64 v8, 0, 1, s[14:15]                       // 000000004F3C: D1000008 00390280
	v_cmp_lt_f32_e64 s[14:15], v3, v7                          // 000000004F44: D041000E 00020F03
	s_nop 1                                                    // 000000004F4C: BF800001
	v_cndmask_b32_e64 v9, 0, 1, s[14:15]                       // 000000004F50: D1000009 00390280
	v_cndmask_b32_e64 v8, v9, v8, s[16:17]                     // 000000004F58: D1000008 00421109
	v_and_b32_e32 v8, 1, v8                                    // 000000004F60: 26101081
	v_cmp_eq_u32_e64 s[14:15], 1, v8                           // 000000004F64: D0CA000E 00021081
	s_andn2_b64 s[16:17], s[18:19], exec                       // 000000004F6C: 89907E12
	s_and_b64 s[14:15], s[14:15], exec                         // 000000004F70: 868E7E0E
	s_or_b64 s[18:19], s[16:17], s[14:15]                      // 000000004F74: 87920E10
	s_or_b64 exec, exec, s[20:21]                              // 000000004F78: 87FE147E
	s_waitcnt lgkmcnt(0)                                       // 000000004F7C: BF8CC07F
	v_cndmask_b32_e64 v2, v2, v6, s[18:19]                     // 000000004F80: D1000002 004A0D02
	v_cndmask_b32_e64 v3, v3, v7, s[18:19]                     // 000000004F88: D1000003 004A0F03
	ds_bpermute_b32 v6, v5, v3                                 // 000000004F90: D87E0000 06000305
	ds_bpermute_b32 v5, v5, v2                                 // 000000004F98: D87E0000 05000205
	s_and_saveexec_b64 s[14:15], s[2:3]                        // 000000004FA0: BE8E2002
	s_xor_b64 s[18:19], exec, s[14:15]                         // 000000004FA4: 88920E7E
	s_cbranch_execz 17                                         // 000000004FA8: BF880011 <_ZN5aiter10DecodeTopKL19topk_per_row_decodeILi1024ELb0ELi4EEEvPKfPKiPiiii+0x33f0>
	s_waitcnt lgkmcnt(1)                                       // 000000004FAC: BF8CC17F
	v_cmp_lt_f32_e64 s[14:15], v3, v6                          // 000000004FB0: D041000E 00020D03
	s_nop 1                                                    // 000000004FB8: BF800001
	v_cndmask_b32_e64 v7, 0, 1, s[14:15]                       // 000000004FBC: D1000007 00390280
	v_cmp_gt_f32_e64 s[14:15], v3, v6                          // 000000004FC4: D044000E 00020D03
	s_nop 1                                                    // 000000004FCC: BF800001
	v_cndmask_b32_e64 v8, 0, 1, s[14:15]                       // 000000004FD0: D1000008 00390280
	v_cndmask_b32_e64 v7, v8, v7, s[10:11]                     // 000000004FD8: D1000007 002A0F08
	v_and_b32_e32 v7, 1, v7                                    // 000000004FE0: 260E0E81
	v_cmp_eq_u32_e64 s[14:15], 1, v7                           // 000000004FE4: D0CA000E 00020E81
	s_and_b64 s[16:17], s[14:15], exec                         // 000000004FEC: 86907E0E
	s_andn2_saveexec_b64 s[18:19], s[18:19]                    // 000000004FF0: BE922312
	s_cbranch_execz 19                                         // 000000004FF4: BF880013 <_ZN5aiter10DecodeTopKL19topk_per_row_decodeILi1024ELb0ELi4EEEvPKfPKiPiiii+0x3444>
	s_waitcnt lgkmcnt(1)                                       // 000000004FF8: BF8CC17F
	v_cmp_gt_f32_e64 s[14:15], v3, v6                          // 000000004FFC: D044000E 00020D03
	s_nop 1                                                    // 000000005004: BF800001
	v_cndmask_b32_e64 v7, 0, 1, s[14:15]                       // 000000005008: D1000007 00390280
	v_cmp_lt_f32_e64 s[14:15], v3, v6                          // 000000005010: D041000E 00020D03
	s_nop 1                                                    // 000000005018: BF800001
	v_cndmask_b32_e64 v8, 0, 1, s[14:15]                       // 00000000501C: D1000008 00390280
	v_cndmask_b32_e64 v7, v8, v7, s[10:11]                     // 000000005024: D1000007 002A0F08
	v_and_b32_e32 v7, 1, v7                                    // 00000000502C: 260E0E81
	v_cmp_eq_u32_e64 s[10:11], 1, v7                           // 000000005030: D0CA000A 00020E81
	s_andn2_b64 s[14:15], s[16:17], exec                       // 000000005038: 898E7E10
	s_and_b64 s[10:11], s[10:11], exec                         // 00000000503C: 868A7E0A
	s_or_b64 s[16:17], s[14:15], s[10:11]                      // 000000005040: 87900A0E
	s_or_b64 exec, exec, s[18:19]                              // 000000005044: 87FE127E
	s_waitcnt lgkmcnt(0)                                       // 000000005048: BF8CC07F
	v_cndmask_b32_e64 v2, v2, v5, s[16:17]                     // 00000000504C: D1000002 00420B02
	v_cndmask_b32_e64 v3, v3, v6, s[16:17]                     // 000000005054: D1000003 00420D03
	ds_bpermute_b32 v5, v4, v3                                 // 00000000505C: D87E0000 05000304
	ds_bpermute_b32 v4, v4, v2                                 // 000000005064: D87E0000 04000204
	s_and_saveexec_b64 s[10:11], s[2:3]                        // 00000000506C: BE8A2002
	s_xor_b64 s[16:17], exec, s[10:11]                         // 000000005070: 88900A7E
	s_cbranch_execz 17                                         // 000000005074: BF880011 <_ZN5aiter10DecodeTopKL19topk_per_row_decodeILi1024ELb0ELi4EEEvPKfPKiPiiii+0x34bc>
	s_waitcnt lgkmcnt(1)                                       // 000000005078: BF8CC17F
	v_cmp_lt_f32_e64 s[10:11], v3, v5                          // 00000000507C: D041000A 00020B03
	s_nop 1                                                    // 000000005084: BF800001
	v_cndmask_b32_e64 v6, 0, 1, s[10:11]                       // 000000005088: D1000006 00290280
	v_cmp_gt_f32_e64 s[10:11], v3, v5                          // 000000005090: D044000A 00020B03
	s_nop 1                                                    // 000000005098: BF800001
	v_cndmask_b32_e64 v7, 0, 1, s[10:11]                       // 00000000509C: D1000007 00290280
	v_cndmask_b32_e64 v6, v7, v6, s[6:7]                       // 0000000050A4: D1000006 001A0D07
	v_and_b32_e32 v6, 1, v6                                    // 0000000050AC: 260C0C81
	v_cmp_eq_u32_e64 s[10:11], 1, v6                           // 0000000050B0: D0CA000A 00020C81
	s_and_b64 s[14:15], s[10:11], exec                         // 0000000050B8: 868E7E0A
	s_andn2_saveexec_b64 s[16:17], s[16:17]                    // 0000000050BC: BE902310
	s_cbranch_execz 19                                         // 0000000050C0: BF880013 <_ZN5aiter10DecodeTopKL19topk_per_row_decodeILi1024ELb0ELi4EEEvPKfPKiPiiii+0x3510>
	s_waitcnt lgkmcnt(1)                                       // 0000000050C4: BF8CC17F
	v_cmp_gt_f32_e64 s[10:11], v3, v5                          // 0000000050C8: D044000A 00020B03
	s_nop 1                                                    // 0000000050D0: BF800001
	v_cndmask_b32_e64 v6, 0, 1, s[10:11]                       // 0000000050D4: D1000006 00290280
	v_cmp_lt_f32_e64 s[10:11], v3, v5                          // 0000000050DC: D041000A 00020B03
	s_nop 1                                                    // 0000000050E4: BF800001
	v_cndmask_b32_e64 v7, 0, 1, s[10:11]                       // 0000000050E8: D1000007 00290280
	v_cndmask_b32_e64 v6, v7, v6, s[6:7]                       // 0000000050F0: D1000006 001A0D07
	v_and_b32_e32 v6, 1, v6                                    // 0000000050F8: 260C0C81
	v_cmp_eq_u32_e64 s[6:7], 1, v6                             // 0000000050FC: D0CA0006 00020C81
	s_andn2_b64 s[10:11], s[14:15], exec                       // 000000005104: 898A7E0E
	s_and_b64 s[6:7], s[6:7], exec                             // 000000005108: 86867E06
	s_or_b64 s[14:15], s[10:11], s[6:7]                        // 00000000510C: 878E060A
	s_or_b64 exec, exec, s[16:17]                              // 000000005110: 87FE107E
	s_waitcnt lgkmcnt(0)                                       // 000000005114: BF8CC07F
	v_cndmask_b32_e64 v2, v2, v4, s[14:15]                     // 000000005118: D1000002 003A0902
	v_cndmask_b32_e64 v3, v3, v5, s[14:15]                     // 000000005120: D1000003 003A0B03
	ds_bpermute_b32 v4, v1, v3                                 // 000000005128: D87E0000 04000301
	ds_bpermute_b32 v1, v1, v2                                 // 000000005130: D87E0000 01000201
	s_and_saveexec_b64 s[6:7], s[2:3]                          // 000000005138: BE862002
	s_xor_b64 s[14:15], exec, s[6:7]                           // 00000000513C: 888E067E
	s_cbranch_execz 17                                         // 000000005140: BF880011 <_ZN5aiter10DecodeTopKL19topk_per_row_decodeILi1024ELb0ELi4EEEvPKfPKiPiiii+0x3588>
	s_waitcnt lgkmcnt(1)                                       // 000000005144: BF8CC17F
	v_cmp_lt_f32_e64 s[6:7], v3, v4                            // 000000005148: D0410006 00020903
	s_nop 1                                                    // 000000005150: BF800001
	v_cndmask_b32_e64 v5, 0, 1, s[6:7]                         // 000000005154: D1000005 00190280
	v_cmp_gt_f32_e64 s[6:7], v3, v4                            // 00000000515C: D0440006 00020903
	s_nop 1                                                    // 000000005164: BF800001
	v_cndmask_b32_e64 v6, 0, 1, s[6:7]                         // 000000005168: D1000006 00190280
	v_cndmask_b32_e64 v5, v6, v5, s[4:5]                       // 000000005170: D1000005 00120B06
	v_and_b32_e32 v5, 1, v5                                    // 000000005178: 260A0A81
	v_cmp_eq_u32_e64 s[6:7], 1, v5                             // 00000000517C: D0CA0006 00020A81
	s_and_b64 s[10:11], s[6:7], exec                           // 000000005184: 868A7E06
	s_andn2_saveexec_b64 s[14:15], s[14:15]                    // 000000005188: BE8E230E
	s_cbranch_execz 19                                         // 00000000518C: BF880013 <_ZN5aiter10DecodeTopKL19topk_per_row_decodeILi1024ELb0ELi4EEEvPKfPKiPiiii+0x35dc>
	s_waitcnt lgkmcnt(1)                                       // 000000005190: BF8CC17F
	v_cmp_gt_f32_e64 s[6:7], v3, v4                            // 000000005194: D0440006 00020903
	s_nop 1                                                    // 00000000519C: BF800001
	v_cndmask_b32_e64 v5, 0, 1, s[6:7]                         // 0000000051A0: D1000005 00190280
	v_cmp_lt_f32_e64 s[6:7], v3, v4                            // 0000000051A8: D0410006 00020903
	s_nop 1                                                    // 0000000051B0: BF800001
	v_cndmask_b32_e64 v6, 0, 1, s[6:7]                         // 0000000051B4: D1000006 00190280
	v_cndmask_b32_e64 v5, v6, v5, s[4:5]                       // 0000000051BC: D1000005 00120B06
	v_and_b32_e32 v5, 1, v5                                    // 0000000051C4: 260A0A81
	v_cmp_eq_u32_e64 s[4:5], 1, v5                             // 0000000051C8: D0CA0004 00020A81
	s_andn2_b64 s[6:7], s[10:11], exec                         // 0000000051D0: 89867E0A
	s_and_b64 s[4:5], s[4:5], exec                             // 0000000051D4: 86847E04
	s_or_b64 s[10:11], s[6:7], s[4:5]                          // 0000000051D8: 878A0406
	s_or_b64 exec, exec, s[14:15]                              // 0000000051DC: 87FE0E7E
	s_waitcnt lgkmcnt(0)                                       // 0000000051E0: BF8CC07F
	v_cndmask_b32_e64 v1, v2, v1, s[10:11]                     // 0000000051E4: D1000001 002A0302
	v_cndmask_b32_e64 v2, v3, v4, s[10:11]                     // 0000000051EC: D1000002 002A0903
	ds_bpermute_b32 v3, v0, v2                                 // 0000000051F4: D87E0000 03000200
	ds_bpermute_b32 v0, v0, v1                                 // 0000000051FC: D87E0000 00000100
	s_and_saveexec_b64 s[6:7], s[2:3]                          // 000000005204: BE862002
	s_xor_b64 s[6:7], exec, s[6:7]                             // 000000005208: 8886067E
	s_cbranch_execz 17                                         // 00000000520C: BF880011 <_ZN5aiter10DecodeTopKL19topk_per_row_decodeILi1024ELb0ELi4EEEvPKfPKiPiiii+0x3654>
	s_waitcnt lgkmcnt(1)                                       // 000000005210: BF8CC17F
	v_cmp_lt_f32_e64 s[2:3], v2, v3                            // 000000005214: D0410002 00020702
	s_nop 1                                                    // 00000000521C: BF800001
	v_cndmask_b32_e64 v4, 0, 1, s[2:3]                         // 000000005220: D1000004 00090280
	v_cmp_gt_f32_e64 s[2:3], v2, v3                            // 000000005228: D0440002 00020702
	s_nop 1                                                    // 000000005230: BF800001
	v_cndmask_b32_e64 v5, 0, 1, s[2:3]                         // 000000005234: D1000005 00090280
	v_cndmask_b32_e64 v4, v5, v4, s[0:1]                       // 00000000523C: D1000004 00020905
	v_and_b32_e32 v4, 1, v4                                    // 000000005244: 26080881
	v_cmp_eq_u32_e64 s[2:3], 1, v4                             // 000000005248: D0CA0002 00020881
	s_and_b64 s[4:5], s[2:3], exec                             // 000000005250: 86847E02
	s_andn2_saveexec_b64 s[6:7], s[6:7]                        // 000000005254: BE862306
	s_cbranch_execz 19                                         // 000000005258: BF880013 <_ZN5aiter10DecodeTopKL19topk_per_row_decodeILi1024ELb0ELi4EEEvPKfPKiPiiii+0x36a8>
	s_waitcnt lgkmcnt(1)                                       // 00000000525C: BF8CC17F
	v_cmp_gt_f32_e64 s[2:3], v2, v3                            // 000000005260: D0440002 00020702
	s_nop 1                                                    // 000000005268: BF800001
	v_cndmask_b32_e64 v4, 0, 1, s[2:3]                         // 00000000526C: D1000004 00090280
	v_cmp_lt_f32_e64 s[2:3], v2, v3                            // 000000005274: D0410002 00020702
	s_nop 1                                                    // 00000000527C: BF800001
	v_cndmask_b32_e64 v5, 0, 1, s[2:3]                         // 000000005280: D1000005 00090280
	v_cndmask_b32_e64 v4, v5, v4, s[0:1]                       // 000000005288: D1000004 00020905
	v_and_b32_e32 v4, 1, v4                                    // 000000005290: 26080881
	v_cmp_eq_u32_e64 s[0:1], 1, v4                             // 000000005294: D0CA0000 00020881
	s_andn2_b64 s[2:3], s[4:5], exec                           // 00000000529C: 89827E04
	s_and_b64 s[0:1], s[0:1], exec                             // 0000000052A0: 86807E00
	s_or_b64 s[4:5], s[2:3], s[0:1]                            // 0000000052A4: 87840002
	s_or_b64 exec, exec, s[6:7]                                // 0000000052A8: 87FE067E
	s_waitcnt lgkmcnt(1)                                       // 0000000052AC: BF8CC17F
	v_cndmask_b32_e64 v2, v2, v3, s[4:5]                       // 0000000052B0: D1000002 00120702
	s_waitcnt lgkmcnt(0)                                       // 0000000052B8: BF8CC07F
	v_cndmask_b32_e64 v0, v1, v0, s[4:5]                       // 0000000052BC: D1000000 00120101
	ds_write_b32 v13, v2 offset:8208                           // 0000000052C4: D81A2010 0000020D
	ds_write_b32 v13, v0                                       // 0000000052CC: D81A0000 0000000D
	s_waitcnt lgkmcnt(0)                                       // 0000000052D4: BF8CC07F
	s_barrier                                                  // 0000000052D8: BF8A0000
	v_and_b32_e32 v0, 0x80, v12                                // 0000000052DC: 260018FF 00000080
	v_cmp_eq_u32_e64 s[16:17], 0, v0                           // 0000000052E4: D0CA0010 00020080
	v_xor_b32_e32 v0, 64, v12                                  // 0000000052EC: 2A0018C0
	v_cmp_gt_u32_e64 s[0:1], v0, v12                           // 0000000052F0: D0CC0000 00021900
	v_lshlrev_b32_e32 v0, 2, v0                                // 0000000052F8: 24000082
	s_and_saveexec_b64 s[4:5], s[0:1]                          // 0000000052FC: BE842000
	s_cbranch_execz 36                                         // 000000005300: BF880024 <_ZN5aiter10DecodeTopKL19topk_per_row_decodeILi1024ELb0ELi4EEEvPKfPKiPiiii+0x3794>
	ds_read_b32 v1, v13 offset:8208                            // 000000005304: D86C2010 0100000D
	ds_read_b32 v2, v0 offset:8208                             // 00000000530C: D86C2010 02000000
	s_waitcnt lgkmcnt(0)                                       // 000000005314: BF8CC07F
	v_cmp_lt_f32_e64 s[2:3], v1, v2                            // 000000005318: D0410002 00020501
	s_nop 1                                                    // 000000005320: BF800001
	v_cndmask_b32_e64 v3, 0, 1, s[2:3]                         // 000000005324: D1000003 00090280
	v_cmp_gt_f32_e64 s[2:3], v1, v2                            // 00000000532C: D0440002 00020501
	s_nop 1                                                    // 000000005334: BF800001
	v_cndmask_b32_e64 v4, 0, 1, s[2:3]                         // 000000005338: D1000004 00090280
	v_cndmask_b32_e64 v3, v4, v3, s[16:17]                     // 000000005340: D1000003 00420704
	v_and_b32_e32 v3, 1, v3                                    // 000000005348: 26060681
	v_cmp_eq_u32_e64 s[2:3], 1, v3                             // 00000000534C: D0CA0002 00020681
	s_and_b64 exec, exec, s[2:3]                               // 000000005354: 86FE027E
	s_cbranch_execz 14                                         // 000000005358: BF88000E <_ZN5aiter10DecodeTopKL19topk_per_row_decodeILi1024ELb0ELi4EEEvPKfPKiPiiii+0x3794>
	ds_read_b32 v3, v0                                         // 00000000535C: D86C0000 03000000
	ds_read_b32 v4, v13                                        // 000000005364: D86C0000 0400000D
	ds_write_b32 v13, v2 offset:8208                           // 00000000536C: D81A2010 0000020D
	ds_write_b32 v0, v1 offset:8208                            // 000000005374: D81A2010 00000100
	s_waitcnt lgkmcnt(3)                                       // 00000000537C: BF8CC37F
	ds_write_b32 v13, v3                                       // 000000005380: D81A0000 0000030D
	s_waitcnt lgkmcnt(3)                                       // 000000005388: BF8CC37F
	ds_write_b32 v0, v4                                        // 00000000538C: D81A0000 00000400
	s_or_b64 exec, exec, s[4:5]                                // 000000005394: 87FE047E
	s_waitcnt lgkmcnt(0)                                       // 000000005398: BF8CC07F
	s_barrier                                                  // 00000000539C: BF8A0000
	v_xor_b32_e32 v1, 32, v12                                  // 0000000053A0: 2A0218A0
	v_cmp_gt_u32_e64 s[2:3], v1, v12                           // 0000000053A4: D0CC0002 00021901
	v_lshlrev_b32_e32 v1, 2, v1                                // 0000000053AC: 24020282
	s_and_saveexec_b64 s[6:7], s[2:3]                          // 0000000053B0: BE862002
	s_cbranch_execz 36                                         // 0000000053B4: BF880024 <_ZN5aiter10DecodeTopKL19topk_per_row_decodeILi1024ELb0ELi4EEEvPKfPKiPiiii+0x3848>
	ds_read_b32 v2, v13 offset:8208                            // 0000000053B8: D86C2010 0200000D
	ds_read_b32 v3, v1 offset:8208                             // 0000000053C0: D86C2010 03000001
	s_waitcnt lgkmcnt(0)                                       // 0000000053C8: BF8CC07F
	v_cmp_lt_f32_e64 s[4:5], v2, v3                            // 0000000053CC: D0410004 00020702
	s_nop 1                                                    // 0000000053D4: BF800001
	v_cndmask_b32_e64 v4, 0, 1, s[4:5]                         // 0000000053D8: D1000004 00110280
	v_cmp_gt_f32_e64 s[4:5], v2, v3                            // 0000000053E0: D0440004 00020702
	s_nop 1                                                    // 0000000053E8: BF800001
	v_cndmask_b32_e64 v5, 0, 1, s[4:5]                         // 0000000053EC: D1000005 00110280
	v_cndmask_b32_e64 v4, v5, v4, s[16:17]                     // 0000000053F4: D1000004 00420905
	v_and_b32_e32 v4, 1, v4                                    // 0000000053FC: 26080881
	v_cmp_eq_u32_e64 s[4:5], 1, v4                             // 000000005400: D0CA0004 00020881
	s_and_b64 exec, exec, s[4:5]                               // 000000005408: 86FE047E
	s_cbranch_execz 14                                         // 00000000540C: BF88000E <_ZN5aiter10DecodeTopKL19topk_per_row_decodeILi1024ELb0ELi4EEEvPKfPKiPiiii+0x3848>
	ds_read_b32 v4, v1                                         // 000000005410: D86C0000 04000001
	ds_read_b32 v5, v13                                        // 000000005418: D86C0000 0500000D
	ds_write_b32 v13, v3 offset:8208                           // 000000005420: D81A2010 0000030D
	ds_write_b32 v1, v2 offset:8208                            // 000000005428: D81A2010 00000201
	s_waitcnt lgkmcnt(3)                                       // 000000005430: BF8CC37F
	ds_write_b32 v13, v4                                       // 000000005434: D81A0000 0000040D
	s_waitcnt lgkmcnt(3)                                       // 00000000543C: BF8CC37F
	ds_write_b32 v1, v5                                        // 000000005440: D81A0000 00000501
	s_or_b64 exec, exec, s[6:7]                                // 000000005448: 87FE067E
	s_waitcnt lgkmcnt(0)                                       // 00000000544C: BF8CC07F
	s_barrier                                                  // 000000005450: BF8A0000
	v_xor_b32_e32 v2, 16, v12                                  // 000000005454: 2A041890
	v_cmp_gt_u32_e64 s[4:5], v2, v12                           // 000000005458: D0CC0004 00021902
	v_lshlrev_b32_e32 v2, 2, v2                                // 000000005460: 24040482
	s_and_saveexec_b64 s[10:11], s[4:5]                        // 000000005464: BE8A2004
	s_cbranch_execz 36                                         // 000000005468: BF880024 <_ZN5aiter10DecodeTopKL19topk_per_row_decodeILi1024ELb0ELi4EEEvPKfPKiPiiii+0x38fc>
	ds_read_b32 v3, v13 offset:8208                            // 00000000546C: D86C2010 0300000D
	ds_read_b32 v4, v2 offset:8208                             // 000000005474: D86C2010 04000002
	s_waitcnt lgkmcnt(0)                                       // 00000000547C: BF8CC07F
	v_cmp_lt_f32_e64 s[6:7], v3, v4                            // 000000005480: D0410006 00020903
	s_nop 1                                                    // 000000005488: BF800001
	v_cndmask_b32_e64 v5, 0, 1, s[6:7]                         // 00000000548C: D1000005 00190280
	v_cmp_gt_f32_e64 s[6:7], v3, v4                            // 000000005494: D0440006 00020903
	s_nop 1                                                    // 00000000549C: BF800001
	v_cndmask_b32_e64 v6, 0, 1, s[6:7]                         // 0000000054A0: D1000006 00190280
	v_cndmask_b32_e64 v5, v6, v5, s[16:17]                     // 0000000054A8: D1000005 00420B06
	v_and_b32_e32 v5, 1, v5                                    // 0000000054B0: 260A0A81
	v_cmp_eq_u32_e64 s[6:7], 1, v5                             // 0000000054B4: D0CA0006 00020A81
	s_and_b64 exec, exec, s[6:7]                               // 0000000054BC: 86FE067E
	s_cbranch_execz 14                                         // 0000000054C0: BF88000E <_ZN5aiter10DecodeTopKL19topk_per_row_decodeILi1024ELb0ELi4EEEvPKfPKiPiiii+0x38fc>
	ds_read_b32 v5, v2                                         // 0000000054C4: D86C0000 05000002
	ds_read_b32 v6, v13                                        // 0000000054CC: D86C0000 0600000D
	ds_write_b32 v13, v4 offset:8208                           // 0000000054D4: D81A2010 0000040D
	ds_write_b32 v2, v3 offset:8208                            // 0000000054DC: D81A2010 00000302
	s_waitcnt lgkmcnt(3)                                       // 0000000054E4: BF8CC37F
	ds_write_b32 v13, v5                                       // 0000000054E8: D81A0000 0000050D
	s_waitcnt lgkmcnt(3)                                       // 0000000054F0: BF8CC37F
	ds_write_b32 v2, v6                                        // 0000000054F4: D81A0000 00000602
	s_or_b64 exec, exec, s[10:11]                              // 0000000054FC: 87FE0A7E
	s_waitcnt lgkmcnt(0)                                       // 000000005500: BF8CC07F
	s_barrier                                                  // 000000005504: BF8A0000
	v_xor_b32_e32 v3, 8, v12                                   // 000000005508: 2A061888
	v_cmp_gt_u32_e64 s[6:7], v3, v12                           // 00000000550C: D0CC0006 00021903
	v_lshlrev_b32_e32 v3, 2, v3                                // 000000005514: 24060682
	s_and_saveexec_b64 s[14:15], s[6:7]                        // 000000005518: BE8E2006
	s_cbranch_execz 36                                         // 00000000551C: BF880024 <_ZN5aiter10DecodeTopKL19topk_per_row_decodeILi1024ELb0ELi4EEEvPKfPKiPiiii+0x39b0>
	ds_read_b32 v4, v13 offset:8208                            // 000000005520: D86C2010 0400000D
	ds_read_b32 v5, v3 offset:8208                             // 000000005528: D86C2010 05000003
	s_waitcnt lgkmcnt(0)                                       // 000000005530: BF8CC07F
	v_cmp_lt_f32_e64 s[10:11], v4, v5                          // 000000005534: D041000A 00020B04
	s_nop 1                                                    // 00000000553C: BF800001
	v_cndmask_b32_e64 v6, 0, 1, s[10:11]                       // 000000005540: D1000006 00290280
	v_cmp_gt_f32_e64 s[10:11], v4, v5                          // 000000005548: D044000A 00020B04
	s_nop 1                                                    // 000000005550: BF800001
	v_cndmask_b32_e64 v7, 0, 1, s[10:11]                       // 000000005554: D1000007 00290280
	v_cndmask_b32_e64 v6, v7, v6, s[16:17]                     // 00000000555C: D1000006 00420D07
	v_and_b32_e32 v6, 1, v6                                    // 000000005564: 260C0C81
	v_cmp_eq_u32_e64 s[10:11], 1, v6                           // 000000005568: D0CA000A 00020C81
	s_and_b64 exec, exec, s[10:11]                             // 000000005570: 86FE0A7E
	s_cbranch_execz 14                                         // 000000005574: BF88000E <_ZN5aiter10DecodeTopKL19topk_per_row_decodeILi1024ELb0ELi4EEEvPKfPKiPiiii+0x39b0>
	ds_read_b32 v6, v3                                         // 000000005578: D86C0000 06000003
	ds_read_b32 v7, v13                                        // 000000005580: D86C0000 0700000D
	ds_write_b32 v13, v5 offset:8208                           // 000000005588: D81A2010 0000050D
	ds_write_b32 v3, v4 offset:8208                            // 000000005590: D81A2010 00000403
	s_waitcnt lgkmcnt(3)                                       // 000000005598: BF8CC37F
	ds_write_b32 v13, v6                                       // 00000000559C: D81A0000 0000060D
	s_waitcnt lgkmcnt(3)                                       // 0000000055A4: BF8CC37F
	ds_write_b32 v3, v7                                        // 0000000055A8: D81A0000 00000703
	s_or_b64 exec, exec, s[14:15]                              // 0000000055B0: 87FE0E7E
	s_waitcnt lgkmcnt(0)                                       // 0000000055B4: BF8CC07F
	s_barrier                                                  // 0000000055B8: BF8A0000
	v_xor_b32_e32 v4, 4, v12                                   // 0000000055BC: 2A081884
	v_cmp_gt_u32_e64 s[10:11], v4, v12                         // 0000000055C0: D0CC000A 00021904
	v_lshlrev_b32_e32 v4, 2, v4                                // 0000000055C8: 24080882
	s_and_saveexec_b64 s[18:19], s[10:11]                      // 0000000055CC: BE92200A
	s_cbranch_execz 36                                         // 0000000055D0: BF880024 <_ZN5aiter10DecodeTopKL19topk_per_row_decodeILi1024ELb0ELi4EEEvPKfPKiPiiii+0x3a64>
	ds_read_b32 v5, v13 offset:8208                            // 0000000055D4: D86C2010 0500000D
	ds_read_b32 v6, v4 offset:8208                             // 0000000055DC: D86C2010 06000004
	s_waitcnt lgkmcnt(0)                                       // 0000000055E4: BF8CC07F
	v_cmp_lt_f32_e64 s[14:15], v5, v6                          // 0000000055E8: D041000E 00020D05
	s_nop 1                                                    // 0000000055F0: BF800001
	v_cndmask_b32_e64 v7, 0, 1, s[14:15]                       // 0000000055F4: D1000007 00390280
	v_cmp_gt_f32_e64 s[14:15], v5, v6                          // 0000000055FC: D044000E 00020D05
	s_nop 1                                                    // 000000005604: BF800001
	v_cndmask_b32_e64 v8, 0, 1, s[14:15]                       // 000000005608: D1000008 00390280
	v_cndmask_b32_e64 v7, v8, v7, s[16:17]                     // 000000005610: D1000007 00420F08
	v_and_b32_e32 v7, 1, v7                                    // 000000005618: 260E0E81
	v_cmp_eq_u32_e64 s[14:15], 1, v7                           // 00000000561C: D0CA000E 00020E81
	s_and_b64 exec, exec, s[14:15]                             // 000000005624: 86FE0E7E
	s_cbranch_execz 14                                         // 000000005628: BF88000E <_ZN5aiter10DecodeTopKL19topk_per_row_decodeILi1024ELb0ELi4EEEvPKfPKiPiiii+0x3a64>
	ds_read_b32 v7, v4                                         // 00000000562C: D86C0000 07000004
	ds_read_b32 v8, v13                                        // 000000005634: D86C0000 0800000D
	ds_write_b32 v13, v6 offset:8208                           // 00000000563C: D81A2010 0000060D
	ds_write_b32 v4, v5 offset:8208                            // 000000005644: D81A2010 00000504
	s_waitcnt lgkmcnt(3)                                       // 00000000564C: BF8CC37F
	ds_write_b32 v13, v7                                       // 000000005650: D81A0000 0000070D
	s_waitcnt lgkmcnt(3)                                       // 000000005658: BF8CC37F
	ds_write_b32 v4, v8                                        // 00000000565C: D81A0000 00000804
	s_or_b64 exec, exec, s[18:19]                              // 000000005664: 87FE127E
	s_waitcnt lgkmcnt(0)                                       // 000000005668: BF8CC07F
	s_barrier                                                  // 00000000566C: BF8A0000
	v_xor_b32_e32 v5, 2, v12                                   // 000000005670: 2A0A1882
	v_cmp_gt_u32_e64 s[20:21], v5, v12                         // 000000005674: D0CC0014 00021905
	v_lshlrev_b32_e32 v5, 2, v5                                // 00000000567C: 240A0A82
	s_and_saveexec_b64 s[18:19], s[20:21]                      // 000000005680: BE922014
	s_cbranch_execz 36                                         // 000000005684: BF880024 <_ZN5aiter10DecodeTopKL19topk_per_row_decodeILi1024ELb0ELi4EEEvPKfPKiPiiii+0x3b18>
	ds_read_b32 v6, v13 offset:8208                            // 000000005688: D86C2010 0600000D
	ds_read_b32 v7, v5 offset:8208                             // 000000005690: D86C2010 07000005
	s_waitcnt lgkmcnt(0)                                       // 000000005698: BF8CC07F
	v_cmp_lt_f32_e64 s[14:15], v6, v7                          // 00000000569C: D041000E 00020F06
	s_nop 1                                                    // 0000000056A4: BF800001
	v_cndmask_b32_e64 v8, 0, 1, s[14:15]                       // 0000000056A8: D1000008 00390280
	v_cmp_gt_f32_e64 s[14:15], v6, v7                          // 0000000056B0: D044000E 00020F06
	s_nop 1                                                    // 0000000056B8: BF800001
	v_cndmask_b32_e64 v9, 0, 1, s[14:15]                       // 0000000056BC: D1000009 00390280
	v_cndmask_b32_e64 v8, v9, v8, s[16:17]                     // 0000000056C4: D1000008 00421109
	v_and_b32_e32 v8, 1, v8                                    // 0000000056CC: 26101081
	v_cmp_eq_u32_e64 s[14:15], 1, v8                           // 0000000056D0: D0CA000E 00021081
	s_and_b64 exec, exec, s[14:15]                             // 0000000056D8: 86FE0E7E
	s_cbranch_execz 14                                         // 0000000056DC: BF88000E <_ZN5aiter10DecodeTopKL19topk_per_row_decodeILi1024ELb0ELi4EEEvPKfPKiPiiii+0x3b18>
	ds_read_b32 v8, v5                                         // 0000000056E0: D86C0000 08000005
	ds_read_b32 v9, v13                                        // 0000000056E8: D86C0000 0900000D
	ds_write_b32 v13, v7 offset:8208                           // 0000000056F0: D81A2010 0000070D
	ds_write_b32 v5, v6 offset:8208                            // 0000000056F8: D81A2010 00000605
	s_waitcnt lgkmcnt(3)                                       // 000000005700: BF8CC37F
	ds_write_b32 v13, v8                                       // 000000005704: D81A0000 0000080D
	s_waitcnt lgkmcnt(3)                                       // 00000000570C: BF8CC37F
	ds_write_b32 v5, v9                                        // 000000005710: D81A0000 00000905
	s_or_b64 exec, exec, s[18:19]                              // 000000005718: 87FE127E
	s_waitcnt lgkmcnt(0)                                       // 00000000571C: BF8CC07F
	s_barrier                                                  // 000000005720: BF8A0000
	v_xor_b32_e32 v6, 1, v12                                   // 000000005724: 2A0C1881
	v_cmp_gt_u32_e64 s[14:15], v6, v12                         // 000000005728: D0CC000E 00021906
	v_lshlrev_b32_e32 v6, 2, v6                                // 000000005730: 240C0C82
	s_and_saveexec_b64 s[22:23], s[14:15]                      // 000000005734: BE96200E
	s_cbranch_execz 36                                         // 000000005738: BF880024 <_ZN5aiter10DecodeTopKL19topk_per_row_decodeILi1024ELb0ELi4EEEvPKfPKiPiiii+0x3bcc>
	ds_read_b32 v7, v13 offset:8208                            // 00000000573C: D86C2010 0700000D
	ds_read_b32 v8, v6 offset:8208                             // 000000005744: D86C2010 08000006
	s_waitcnt lgkmcnt(0)                                       // 00000000574C: BF8CC07F
	v_cmp_lt_f32_e64 s[18:19], v7, v8                          // 000000005750: D0410012 00021107
	s_nop 1                                                    // 000000005758: BF800001
	v_cndmask_b32_e64 v9, 0, 1, s[18:19]                       // 00000000575C: D1000009 00490280
	v_cmp_gt_f32_e64 s[18:19], v7, v8                          // 000000005764: D0440012 00021107
	s_nop 1                                                    // 00000000576C: BF800001
	v_cndmask_b32_e64 v11, 0, 1, s[18:19]                      // 000000005770: D100000B 00490280
	v_cndmask_b32_e64 v9, v11, v9, s[16:17]                    // 000000005778: D1000009 0042130B
	v_and_b32_e32 v9, 1, v9                                    // 000000005780: 26121281
	v_cmp_eq_u32_e64 s[16:17], 1, v9                           // 000000005784: D0CA0010 00021281
	s_and_b64 exec, exec, s[16:17]                             // 00000000578C: 86FE107E
	s_cbranch_execz 14                                         // 000000005790: BF88000E <_ZN5aiter10DecodeTopKL19topk_per_row_decodeILi1024ELb0ELi4EEEvPKfPKiPiiii+0x3bcc>
	ds_read_b32 v9, v6                                         // 000000005794: D86C0000 09000006
	ds_read_b32 v11, v13                                       // 00000000579C: D86C0000 0B00000D
	ds_write_b32 v13, v8 offset:8208                           // 0000000057A4: D81A2010 0000080D
	ds_write_b32 v6, v7 offset:8208                            // 0000000057AC: D81A2010 00000706
	s_waitcnt lgkmcnt(3)                                       // 0000000057B4: BF8CC37F
	ds_write_b32 v13, v9                                       // 0000000057B8: D81A0000 0000090D
	s_waitcnt lgkmcnt(3)                                       // 0000000057C0: BF8CC37F
	ds_write_b32 v6, v11                                       // 0000000057C4: D81A0000 00000B06
	s_or_b64 exec, exec, s[22:23]                              // 0000000057CC: 87FE167E
	s_waitcnt lgkmcnt(0)                                       // 0000000057D0: BF8CC07F
	s_barrier                                                  // 0000000057D4: BF8A0000
	s_movk_i32 s16, 0x100                                      // 0000000057D8: B0100100
	v_cmp_gt_u32_e64 s[18:19], s16, v12                        // 0000000057DC: D0CC0012 00021810
	v_xor_b32_e32 v7, 0x80, v12                                // 0000000057E4: 2A0E18FF 00000080
	v_cmp_gt_u32_e64 s[16:17], v7, v12                         // 0000000057EC: D0CC0010 00021907
	v_lshlrev_b32_e32 v7, 2, v7                                // 0000000057F4: 240E0E82
	s_and_saveexec_b64 s[22:23], s[16:17]                      // 0000000057F8: BE962010
	s_xor_b64 s[26:27], exec, s[22:23]                         // 0000000057FC: 889A167E
	s_cbranch_execz 37                                         // 000000005800: BF880025 <_ZN5aiter10DecodeTopKL19topk_per_row_decodeILi1024ELb0ELi4EEEvPKfPKiPiiii+0x3c98>
	ds_read_b32 v8, v13 offset:8208                            // 000000005804: D86C2010 0800000D
	ds_read_b32 v9, v7 offset:8208                             // 00000000580C: D86C2010 09000007
	s_waitcnt lgkmcnt(0)                                       // 000000005814: BF8CC07F
	v_cmp_lt_f32_e64 s[22:23], v8, v9                          // 000000005818: D0410016 00021308
	s_nop 1                                                    // 000000005820: BF800001
	v_cndmask_b32_e64 v11, 0, 1, s[22:23]                      // 000000005824: D100000B 00590280
	v_cmp_gt_f32_e64 s[22:23], v8, v9                          // 00000000582C: D0440016 00021308
	s_nop 1                                                    // 000000005834: BF800001
	v_cndmask_b32_e64 v14, 0, 1, s[22:23]                      // 000000005838: D100000E 00590280
	v_cndmask_b32_e64 v11, v14, v11, s[18:19]                  // 000000005840: D100000B 004A170E
	v_and_b32_e32 v11, 1, v11                                  // 000000005848: 26161681
	v_cmp_eq_u32_e64 s[22:23], 1, v11                          // 00000000584C: D0CA0016 00021681
	s_and_saveexec_b64 s[34:35], s[22:23]                      // 000000005854: BEA22016
	s_cbranch_execz 14                                         // 000000005858: BF88000E <_ZN5aiter10DecodeTopKL19topk_per_row_decodeILi1024ELb0ELi4EEEvPKfPKiPiiii+0x3c94>
	ds_read_b32 v11, v7                                        // 00000000585C: D86C0000 0B000007
	ds_read_b32 v14, v13                                       // 000000005864: D86C0000 0E00000D
	ds_write_b32 v13, v9 offset:8208                           // 00000000586C: D81A2010 0000090D
	ds_write_b32 v7, v8 offset:8208                            // 000000005874: D81A2010 00000807
	s_waitcnt lgkmcnt(3)                                       // 00000000587C: BF8CC37F
	ds_write_b32 v13, v11                                      // 000000005880: D81A0000 00000B0D
	s_waitcnt lgkmcnt(3)                                       // 000000005888: BF8CC37F
	ds_write_b32 v7, v14                                       // 00000000588C: D81A0000 00000E07
	s_or_b64 exec, exec, s[34:35]                              // 000000005894: 87FE227E
	s_or_b64 exec, exec, s[26:27]                              // 000000005898: 87FE1A7E
	s_waitcnt lgkmcnt(0)                                       // 00000000589C: BF8CC07F
	s_barrier                                                  // 0000000058A0: BF8A0000
	s_and_saveexec_b64 s[26:27], s[0:1]                        // 0000000058A4: BE9A2000
	s_cbranch_execz 36                                         // 0000000058A8: BF880024 <_ZN5aiter10DecodeTopKL19topk_per_row_decodeILi1024ELb0ELi4EEEvPKfPKiPiiii+0x3d3c>
	ds_read_b32 v8, v13 offset:8208                            // 0000000058AC: D86C2010 0800000D
	ds_read_b32 v9, v0 offset:8208                             // 0000000058B4: D86C2010 09000000
	s_waitcnt lgkmcnt(0)                                       // 0000000058BC: BF8CC07F
	v_cmp_lt_f32_e64 s[22:23], v8, v9                          // 0000000058C0: D0410016 00021308
	s_nop 1                                                    // 0000000058C8: BF800001
	v_cndmask_b32_e64 v11, 0, 1, s[22:23]                      // 0000000058CC: D100000B 00590280
	v_cmp_gt_f32_e64 s[22:23], v8, v9                          // 0000000058D4: D0440016 00021308
	s_nop 1                                                    // 0000000058DC: BF800001
	v_cndmask_b32_e64 v14, 0, 1, s[22:23]                      // 0000000058E0: D100000E 00590280
	v_cndmask_b32_e64 v11, v14, v11, s[18:19]                  // 0000000058E8: D100000B 004A170E
	v_and_b32_e32 v11, 1, v11                                  // 0000000058F0: 26161681
	v_cmp_eq_u32_e64 s[22:23], 1, v11                          // 0000000058F4: D0CA0016 00021681
	s_and_b64 exec, exec, s[22:23]                             // 0000000058FC: 86FE167E
	s_cbranch_execz 14                                         // 000000005900: BF88000E <_ZN5aiter10DecodeTopKL19topk_per_row_decodeILi1024ELb0ELi4EEEvPKfPKiPiiii+0x3d3c>
	ds_read_b32 v11, v0                                        // 000000005904: D86C0000 0B000000
	ds_read_b32 v14, v13                                       // 00000000590C: D86C0000 0E00000D
	ds_write_b32 v13, v9 offset:8208                           // 000000005914: D81A2010 0000090D
	ds_write_b32 v0, v8 offset:8208                            // 00000000591C: D81A2010 00000800
	s_waitcnt lgkmcnt(3)                                       // 000000005924: BF8CC37F
	ds_write_b32 v13, v11                                      // 000000005928: D81A0000 00000B0D
	s_waitcnt lgkmcnt(3)                                       // 000000005930: BF8CC37F
	ds_write_b32 v0, v14                                       // 000000005934: D81A0000 00000E00
	s_or_b64 exec, exec, s[26:27]                              // 00000000593C: 87FE1A7E
	s_waitcnt lgkmcnt(0)                                       // 000000005940: BF8CC07F
	s_barrier                                                  // 000000005944: BF8A0000
	s_and_saveexec_b64 s[26:27], s[2:3]                        // 000000005948: BE9A2002
	s_cbranch_execz 36                                         // 00000000594C: BF880024 <_ZN5aiter10DecodeTopKL19topk_per_row_decodeILi1024ELb0ELi4EEEvPKfPKiPiiii+0x3de0>
	ds_read_b32 v8, v13 offset:8208                            // 000000005950: D86C2010 0800000D
	ds_read_b32 v9, v1 offset:8208                             // 000000005958: D86C2010 09000001
	s_waitcnt lgkmcnt(0)                                       // 000000005960: BF8CC07F
	v_cmp_lt_f32_e64 s[22:23], v8, v9                          // 000000005964: D0410016 00021308
	s_nop 1                                                    // 00000000596C: BF800001
	v_cndmask_b32_e64 v11, 0, 1, s[22:23]                      // 000000005970: D100000B 00590280
	v_cmp_gt_f32_e64 s[22:23], v8, v9                          // 000000005978: D0440016 00021308
	s_nop 1                                                    // 000000005980: BF800001
	v_cndmask_b32_e64 v14, 0, 1, s[22:23]                      // 000000005984: D100000E 00590280
	v_cndmask_b32_e64 v11, v14, v11, s[18:19]                  // 00000000598C: D100000B 004A170E
	v_and_b32_e32 v11, 1, v11                                  // 000000005994: 26161681
	v_cmp_eq_u32_e64 s[22:23], 1, v11                          // 000000005998: D0CA0016 00021681
	s_and_b64 exec, exec, s[22:23]                             // 0000000059A0: 86FE167E
	s_cbranch_execz 14                                         // 0000000059A4: BF88000E <_ZN5aiter10DecodeTopKL19topk_per_row_decodeILi1024ELb0ELi4EEEvPKfPKiPiiii+0x3de0>
	ds_read_b32 v11, v1                                        // 0000000059A8: D86C0000 0B000001
	ds_read_b32 v14, v13                                       // 0000000059B0: D86C0000 0E00000D
	ds_write_b32 v13, v9 offset:8208                           // 0000000059B8: D81A2010 0000090D
	ds_write_b32 v1, v8 offset:8208                            // 0000000059C0: D81A2010 00000801
	s_waitcnt lgkmcnt(3)                                       // 0000000059C8: BF8CC37F
	ds_write_b32 v13, v11                                      // 0000000059CC: D81A0000 00000B0D
	s_waitcnt lgkmcnt(3)                                       // 0000000059D4: BF8CC37F
	ds_write_b32 v1, v14                                       // 0000000059D8: D81A0000 00000E01
	s_or_b64 exec, exec, s[26:27]                              // 0000000059E0: 87FE1A7E
	s_waitcnt lgkmcnt(0)                                       // 0000000059E4: BF8CC07F
	s_barrier                                                  // 0000000059E8: BF8A0000
	s_and_saveexec_b64 s[26:27], s[4:5]                        // 0000000059EC: BE9A2004
	s_cbranch_execz 36                                         // 0000000059F0: BF880024 <_ZN5aiter10DecodeTopKL19topk_per_row_decodeILi1024ELb0ELi4EEEvPKfPKiPiiii+0x3e84>
	ds_read_b32 v8, v13 offset:8208                            // 0000000059F4: D86C2010 0800000D
	ds_read_b32 v9, v2 offset:8208                             // 0000000059FC: D86C2010 09000002
	s_waitcnt lgkmcnt(0)                                       // 000000005A04: BF8CC07F
	v_cmp_lt_f32_e64 s[22:23], v8, v9                          // 000000005A08: D0410016 00021308
	s_nop 1                                                    // 000000005A10: BF800001
	v_cndmask_b32_e64 v11, 0, 1, s[22:23]                      // 000000005A14: D100000B 00590280
	v_cmp_gt_f32_e64 s[22:23], v8, v9                          // 000000005A1C: D0440016 00021308
	s_nop 1                                                    // 000000005A24: BF800001
	v_cndmask_b32_e64 v14, 0, 1, s[22:23]                      // 000000005A28: D100000E 00590280
	v_cndmask_b32_e64 v11, v14, v11, s[18:19]                  // 000000005A30: D100000B 004A170E
	v_and_b32_e32 v11, 1, v11                                  // 000000005A38: 26161681
	v_cmp_eq_u32_e64 s[22:23], 1, v11                          // 000000005A3C: D0CA0016 00021681
	s_and_b64 exec, exec, s[22:23]                             // 000000005A44: 86FE167E
	s_cbranch_execz 14                                         // 000000005A48: BF88000E <_ZN5aiter10DecodeTopKL19topk_per_row_decodeILi1024ELb0ELi4EEEvPKfPKiPiiii+0x3e84>
	ds_read_b32 v11, v2                                        // 000000005A4C: D86C0000 0B000002
	ds_read_b32 v14, v13                                       // 000000005A54: D86C0000 0E00000D
	ds_write_b32 v13, v9 offset:8208                           // 000000005A5C: D81A2010 0000090D
	ds_write_b32 v2, v8 offset:8208                            // 000000005A64: D81A2010 00000802
	s_waitcnt lgkmcnt(3)                                       // 000000005A6C: BF8CC37F
	ds_write_b32 v13, v11                                      // 000000005A70: D81A0000 00000B0D
	s_waitcnt lgkmcnt(3)                                       // 000000005A78: BF8CC37F
	ds_write_b32 v2, v14                                       // 000000005A7C: D81A0000 00000E02
	s_or_b64 exec, exec, s[26:27]                              // 000000005A84: 87FE1A7E
	s_waitcnt lgkmcnt(0)                                       // 000000005A88: BF8CC07F
	s_barrier                                                  // 000000005A8C: BF8A0000
	s_and_saveexec_b64 s[26:27], s[6:7]                        // 000000005A90: BE9A2006
	s_cbranch_execz 36                                         // 000000005A94: BF880024 <_ZN5aiter10DecodeTopKL19topk_per_row_decodeILi1024ELb0ELi4EEEvPKfPKiPiiii+0x3f28>
	ds_read_b32 v8, v13 offset:8208                            // 000000005A98: D86C2010 0800000D
	ds_read_b32 v9, v3 offset:8208                             // 000000005AA0: D86C2010 09000003
	s_waitcnt lgkmcnt(0)                                       // 000000005AA8: BF8CC07F
	v_cmp_lt_f32_e64 s[22:23], v8, v9                          // 000000005AAC: D0410016 00021308
	s_nop 1                                                    // 000000005AB4: BF800001
	v_cndmask_b32_e64 v11, 0, 1, s[22:23]                      // 000000005AB8: D100000B 00590280
	v_cmp_gt_f32_e64 s[22:23], v8, v9                          // 000000005AC0: D0440016 00021308
	s_nop 1                                                    // 000000005AC8: BF800001
	v_cndmask_b32_e64 v14, 0, 1, s[22:23]                      // 000000005ACC: D100000E 00590280
	v_cndmask_b32_e64 v11, v14, v11, s[18:19]                  // 000000005AD4: D100000B 004A170E
	v_and_b32_e32 v11, 1, v11                                  // 000000005ADC: 26161681
	v_cmp_eq_u32_e64 s[22:23], 1, v11                          // 000000005AE0: D0CA0016 00021681
	s_and_b64 exec, exec, s[22:23]                             // 000000005AE8: 86FE167E
	s_cbranch_execz 14                                         // 000000005AEC: BF88000E <_ZN5aiter10DecodeTopKL19topk_per_row_decodeILi1024ELb0ELi4EEEvPKfPKiPiiii+0x3f28>
	ds_read_b32 v11, v3                                        // 000000005AF0: D86C0000 0B000003
	ds_read_b32 v14, v13                                       // 000000005AF8: D86C0000 0E00000D
	ds_write_b32 v13, v9 offset:8208                           // 000000005B00: D81A2010 0000090D
	ds_write_b32 v3, v8 offset:8208                            // 000000005B08: D81A2010 00000803
	s_waitcnt lgkmcnt(3)                                       // 000000005B10: BF8CC37F
	ds_write_b32 v13, v11                                      // 000000005B14: D81A0000 00000B0D
	s_waitcnt lgkmcnt(3)                                       // 000000005B1C: BF8CC37F
	ds_write_b32 v3, v14                                       // 000000005B20: D81A0000 00000E03
	s_or_b64 exec, exec, s[26:27]                              // 000000005B28: 87FE1A7E
	s_waitcnt lgkmcnt(0)                                       // 000000005B2C: BF8CC07F
	s_barrier                                                  // 000000005B30: BF8A0000
	s_and_saveexec_b64 s[26:27], s[10:11]                      // 000000005B34: BE9A200A
	s_cbranch_execz 36                                         // 000000005B38: BF880024 <_ZN5aiter10DecodeTopKL19topk_per_row_decodeILi1024ELb0ELi4EEEvPKfPKiPiiii+0x3fcc>
	ds_read_b32 v8, v13 offset:8208                            // 000000005B3C: D86C2010 0800000D
	ds_read_b32 v9, v4 offset:8208                             // 000000005B44: D86C2010 09000004
	s_waitcnt lgkmcnt(0)                                       // 000000005B4C: BF8CC07F
	v_cmp_lt_f32_e64 s[22:23], v8, v9                          // 000000005B50: D0410016 00021308
	s_nop 1                                                    // 000000005B58: BF800001
	v_cndmask_b32_e64 v11, 0, 1, s[22:23]                      // 000000005B5C: D100000B 00590280
	v_cmp_gt_f32_e64 s[22:23], v8, v9                          // 000000005B64: D0440016 00021308
	s_nop 1                                                    // 000000005B6C: BF800001
	v_cndmask_b32_e64 v14, 0, 1, s[22:23]                      // 000000005B70: D100000E 00590280
	v_cndmask_b32_e64 v11, v14, v11, s[18:19]                  // 000000005B78: D100000B 004A170E
	v_and_b32_e32 v11, 1, v11                                  // 000000005B80: 26161681
	v_cmp_eq_u32_e64 s[22:23], 1, v11                          // 000000005B84: D0CA0016 00021681
	s_and_b64 exec, exec, s[22:23]                             // 000000005B8C: 86FE167E
	s_cbranch_execz 14                                         // 000000005B90: BF88000E <_ZN5aiter10DecodeTopKL19topk_per_row_decodeILi1024ELb0ELi4EEEvPKfPKiPiiii+0x3fcc>
	ds_read_b32 v11, v4                                        // 000000005B94: D86C0000 0B000004
	ds_read_b32 v14, v13                                       // 000000005B9C: D86C0000 0E00000D
	ds_write_b32 v13, v9 offset:8208                           // 000000005BA4: D81A2010 0000090D
	ds_write_b32 v4, v8 offset:8208                            // 000000005BAC: D81A2010 00000804
	s_waitcnt lgkmcnt(3)                                       // 000000005BB4: BF8CC37F
	ds_write_b32 v13, v11                                      // 000000005BB8: D81A0000 00000B0D
	s_waitcnt lgkmcnt(3)                                       // 000000005BC0: BF8CC37F
	ds_write_b32 v4, v14                                       // 000000005BC4: D81A0000 00000E04
	s_or_b64 exec, exec, s[26:27]                              // 000000005BCC: 87FE1A7E
	s_waitcnt lgkmcnt(0)                                       // 000000005BD0: BF8CC07F
	s_barrier                                                  // 000000005BD4: BF8A0000
	s_and_saveexec_b64 s[26:27], s[20:21]                      // 000000005BD8: BE9A2014
	s_cbranch_execz 36                                         // 000000005BDC: BF880024 <_ZN5aiter10DecodeTopKL19topk_per_row_decodeILi1024ELb0ELi4EEEvPKfPKiPiiii+0x4070>
	ds_read_b32 v8, v13 offset:8208                            // 000000005BE0: D86C2010 0800000D
	ds_read_b32 v9, v5 offset:8208                             // 000000005BE8: D86C2010 09000005
	s_waitcnt lgkmcnt(0)                                       // 000000005BF0: BF8CC07F
	v_cmp_lt_f32_e64 s[22:23], v8, v9                          // 000000005BF4: D0410016 00021308
	s_nop 1                                                    // 000000005BFC: BF800001
	v_cndmask_b32_e64 v11, 0, 1, s[22:23]                      // 000000005C00: D100000B 00590280
	v_cmp_gt_f32_e64 s[22:23], v8, v9                          // 000000005C08: D0440016 00021308
	s_nop 1                                                    // 000000005C10: BF800001
	v_cndmask_b32_e64 v14, 0, 1, s[22:23]                      // 000000005C14: D100000E 00590280
	v_cndmask_b32_e64 v11, v14, v11, s[18:19]                  // 000000005C1C: D100000B 004A170E
	v_and_b32_e32 v11, 1, v11                                  // 000000005C24: 26161681
	v_cmp_eq_u32_e64 s[22:23], 1, v11                          // 000000005C28: D0CA0016 00021681
	s_and_b64 exec, exec, s[22:23]                             // 000000005C30: 86FE167E
	s_cbranch_execz 14                                         // 000000005C34: BF88000E <_ZN5aiter10DecodeTopKL19topk_per_row_decodeILi1024ELb0ELi4EEEvPKfPKiPiiii+0x4070>
	ds_read_b32 v11, v5                                        // 000000005C38: D86C0000 0B000005
	ds_read_b32 v14, v13                                       // 000000005C40: D86C0000 0E00000D
	ds_write_b32 v13, v9 offset:8208                           // 000000005C48: D81A2010 0000090D
	ds_write_b32 v5, v8 offset:8208                            // 000000005C50: D81A2010 00000805
	s_waitcnt lgkmcnt(3)                                       // 000000005C58: BF8CC37F
	ds_write_b32 v13, v11                                      // 000000005C5C: D81A0000 00000B0D
	s_waitcnt lgkmcnt(3)                                       // 000000005C64: BF8CC37F
	ds_write_b32 v5, v14                                       // 000000005C68: D81A0000 00000E05
	s_or_b64 exec, exec, s[26:27]                              // 000000005C70: 87FE1A7E
	s_waitcnt lgkmcnt(0)                                       // 000000005C74: BF8CC07F
	s_barrier                                                  // 000000005C78: BF8A0000
	s_and_saveexec_b64 s[26:27], s[14:15]                      // 000000005C7C: BE9A200E
	s_cbranch_execz 36                                         // 000000005C80: BF880024 <_ZN5aiter10DecodeTopKL19topk_per_row_decodeILi1024ELb0ELi4EEEvPKfPKiPiiii+0x4114>
	ds_read_b32 v8, v13 offset:8208                            // 000000005C84: D86C2010 0800000D
	ds_read_b32 v9, v6 offset:8208                             // 000000005C8C: D86C2010 09000006
	s_waitcnt lgkmcnt(0)                                       // 000000005C94: BF8CC07F
	v_cmp_lt_f32_e64 s[22:23], v8, v9                          // 000000005C98: D0410016 00021308
	s_nop 1                                                    // 000000005CA0: BF800001
	v_cndmask_b32_e64 v11, 0, 1, s[22:23]                      // 000000005CA4: D100000B 00590280
	v_cmp_gt_f32_e64 s[22:23], v8, v9                          // 000000005CAC: D0440016 00021308
	s_nop 1                                                    // 000000005CB4: BF800001
	v_cndmask_b32_e64 v14, 0, 1, s[22:23]                      // 000000005CB8: D100000E 00590280
	v_cndmask_b32_e64 v11, v14, v11, s[18:19]                  // 000000005CC0: D100000B 004A170E
	v_and_b32_e32 v11, 1, v11                                  // 000000005CC8: 26161681
	v_cmp_eq_u32_e64 s[18:19], 1, v11                          // 000000005CCC: D0CA0012 00021681
	s_and_b64 exec, exec, s[18:19]                             // 000000005CD4: 86FE127E
	s_cbranch_execz 14                                         // 000000005CD8: BF88000E <_ZN5aiter10DecodeTopKL19topk_per_row_decodeILi1024ELb0ELi4EEEvPKfPKiPiiii+0x4114>
	ds_read_b32 v11, v6                                        // 000000005CDC: D86C0000 0B000006
	ds_read_b32 v14, v13                                       // 000000005CE4: D86C0000 0E00000D
	ds_write_b32 v13, v9 offset:8208                           // 000000005CEC: D81A2010 0000090D
	ds_write_b32 v6, v8 offset:8208                            // 000000005CF4: D81A2010 00000806
	s_waitcnt lgkmcnt(3)                                       // 000000005CFC: BF8CC37F
	ds_write_b32 v13, v11                                      // 000000005D00: D81A0000 00000B0D
	s_waitcnt lgkmcnt(3)                                       // 000000005D08: BF8CC37F
	ds_write_b32 v6, v14                                       // 000000005D0C: D81A0000 00000E06
	s_or_b64 exec, exec, s[26:27]                              // 000000005D14: 87FE1A7E
	s_waitcnt lgkmcnt(0)                                       // 000000005D18: BF8CC07F
	s_barrier                                                  // 000000005D1C: BF8A0000
	v_xor_b32_e32 v8, 0x100, v12                               // 000000005D20: 2A1018FF 00000100
	v_cmp_gt_u32_e64 s[18:19], v8, v12                         // 000000005D28: D0CC0012 00021908
	s_and_saveexec_b64 s[22:23], s[18:19]                      // 000000005D30: BE962012
	s_cbranch_execz 24                                         // 000000005D34: BF880018 <_ZN5aiter10DecodeTopKL19topk_per_row_decodeILi1024ELb0ELi4EEEvPKfPKiPiiii+0x4198>
	v_lshlrev_b32_e32 v8, 2, v8                                // 000000005D38: 24101082
	ds_read_b32 v9, v13 offset:8208                            // 000000005D3C: D86C2010 0900000D
	ds_read_b32 v11, v8 offset:8208                            // 000000005D44: D86C2010 0B000008
	s_waitcnt lgkmcnt(0)                                       // 000000005D4C: BF8CC07F
	v_cmp_lt_f32_e64 s[18:19], v9, v11                         // 000000005D50: D0410012 00021709
	s_and_b64 exec, exec, s[18:19]                             // 000000005D58: 86FE127E
	s_cbranch_execz 14                                         // 000000005D5C: BF88000E <_ZN5aiter10DecodeTopKL19topk_per_row_decodeILi1024ELb0ELi4EEEvPKfPKiPiiii+0x4198>
	ds_read_b32 v14, v8                                        // 000000005D60: D86C0000 0E000008
	ds_read_b32 v15, v13                                       // 000000005D68: D86C0000 0F00000D
	ds_write_b32 v13, v11 offset:8208                          // 000000005D70: D81A2010 00000B0D
	ds_write_b32 v8, v9 offset:8208                            // 000000005D78: D81A2010 00000908
	s_waitcnt lgkmcnt(3)                                       // 000000005D80: BF8CC37F
	ds_write_b32 v13, v14                                      // 000000005D84: D81A0000 00000E0D
	s_waitcnt lgkmcnt(3)                                       // 000000005D8C: BF8CC37F
	ds_write_b32 v8, v15                                       // 000000005D90: D81A0000 00000F08
	s_or_b64 exec, exec, s[22:23]                              // 000000005D98: 87FE167E
	s_waitcnt lgkmcnt(0)                                       // 000000005D9C: BF8CC07F
	s_barrier                                                  // 000000005DA0: BF8A0000
	s_and_saveexec_b64 s[18:19], s[16:17]                      // 000000005DA4: BE922010
	s_cbranch_execz 23                                         // 000000005DA8: BF880017 <_ZN5aiter10DecodeTopKL19topk_per_row_decodeILi1024ELb0ELi4EEEvPKfPKiPiiii+0x4208>
	ds_read_b32 v8, v13 offset:8208                            // 000000005DAC: D86C2010 0800000D
	ds_read_b32 v9, v7 offset:8208                             // 000000005DB4: D86C2010 09000007
	s_waitcnt lgkmcnt(0)                                       // 000000005DBC: BF8CC07F
	v_cmp_lt_f32_e64 s[16:17], v8, v9                          // 000000005DC0: D0410010 00021308
	s_and_b64 exec, exec, s[16:17]                             // 000000005DC8: 86FE107E
	s_cbranch_execz 14                                         // 000000005DCC: BF88000E <_ZN5aiter10DecodeTopKL19topk_per_row_decodeILi1024ELb0ELi4EEEvPKfPKiPiiii+0x4208>
	ds_read_b32 v11, v7                                        // 000000005DD0: D86C0000 0B000007
	ds_read_b32 v14, v13                                       // 000000005DD8: D86C0000 0E00000D
	ds_write_b32 v13, v9 offset:8208                           // 000000005DE0: D81A2010 0000090D
	ds_write_b32 v7, v8 offset:8208                            // 000000005DE8: D81A2010 00000807
	s_waitcnt lgkmcnt(3)                                       // 000000005DF0: BF8CC37F
	ds_write_b32 v13, v11                                      // 000000005DF4: D81A0000 00000B0D
	s_waitcnt lgkmcnt(3)                                       // 000000005DFC: BF8CC37F
	ds_write_b32 v7, v14                                       // 000000005E00: D81A0000 00000E07
	s_or_b64 exec, exec, s[18:19]                              // 000000005E08: 87FE127E
	s_waitcnt lgkmcnt(0)                                       // 000000005E0C: BF8CC07F
	s_barrier                                                  // 000000005E10: BF8A0000
	s_and_saveexec_b64 s[16:17], s[0:1]                        // 000000005E14: BE902000
	s_cbranch_execz 23                                         // 000000005E18: BF880017 <_ZN5aiter10DecodeTopKL19topk_per_row_decodeILi1024ELb0ELi4EEEvPKfPKiPiiii+0x4278>
	ds_read_b32 v7, v13 offset:8208                            // 000000005E1C: D86C2010 0700000D
	ds_read_b32 v8, v0 offset:8208                             // 000000005E24: D86C2010 08000000
	s_waitcnt lgkmcnt(0)                                       // 000000005E2C: BF8CC07F
	v_cmp_lt_f32_e64 s[0:1], v7, v8                            // 000000005E30: D0410000 00021107
	s_and_b64 exec, exec, s[0:1]                               // 000000005E38: 86FE007E
	s_cbranch_execz 14                                         // 000000005E3C: BF88000E <_ZN5aiter10DecodeTopKL19topk_per_row_decodeILi1024ELb0ELi4EEEvPKfPKiPiiii+0x4278>
	ds_read_b32 v9, v0                                         // 000000005E40: D86C0000 09000000
	ds_read_b32 v11, v13                                       // 000000005E48: D86C0000 0B00000D
	ds_write_b32 v13, v8 offset:8208                           // 000000005E50: D81A2010 0000080D
	ds_write_b32 v0, v7 offset:8208                            // 000000005E58: D81A2010 00000700
	s_waitcnt lgkmcnt(3)                                       // 000000005E60: BF8CC37F
	ds_write_b32 v13, v9                                       // 000000005E64: D81A0000 0000090D
	s_waitcnt lgkmcnt(3)                                       // 000000005E6C: BF8CC37F
	ds_write_b32 v0, v11                                       // 000000005E70: D81A0000 00000B00
	s_or_b64 exec, exec, s[16:17]                              // 000000005E78: 87FE107E
	s_waitcnt lgkmcnt(0)                                       // 000000005E7C: BF8CC07F
	s_barrier                                                  // 000000005E80: BF8A0000
	s_and_saveexec_b64 s[16:17], s[2:3]                        // 000000005E84: BE902002
	s_cbranch_execz 23                                         // 000000005E88: BF880017 <_ZN5aiter10DecodeTopKL19topk_per_row_decodeILi1024ELb0ELi4EEEvPKfPKiPiiii+0x42e8>
	ds_read_b32 v0, v13 offset:8208                            // 000000005E8C: D86C2010 0000000D
	ds_read_b32 v7, v1 offset:8208                             // 000000005E94: D86C2010 07000001
	s_waitcnt lgkmcnt(0)                                       // 000000005E9C: BF8CC07F
	v_cmp_lt_f32_e64 s[0:1], v0, v7                            // 000000005EA0: D0410000 00020F00
	s_and_b64 exec, exec, s[0:1]                               // 000000005EA8: 86FE007E
	s_cbranch_execz 14                                         // 000000005EAC: BF88000E <_ZN5aiter10DecodeTopKL19topk_per_row_decodeILi1024ELb0ELi4EEEvPKfPKiPiiii+0x42e8>
	ds_read_b32 v8, v1                                         // 000000005EB0: D86C0000 08000001
	ds_read_b32 v9, v13                                        // 000000005EB8: D86C0000 0900000D
	ds_write_b32 v13, v7 offset:8208                           // 000000005EC0: D81A2010 0000070D
	ds_write_b32 v1, v0 offset:8208                            // 000000005EC8: D81A2010 00000001
	s_waitcnt lgkmcnt(3)                                       // 000000005ED0: BF8CC37F
	ds_write_b32 v13, v8                                       // 000000005ED4: D81A0000 0000080D
	s_waitcnt lgkmcnt(3)                                       // 000000005EDC: BF8CC37F
	ds_write_b32 v1, v9                                        // 000000005EE0: D81A0000 00000901
	s_or_b64 exec, exec, s[16:17]                              // 000000005EE8: 87FE107E
	s_waitcnt lgkmcnt(0)                                       // 000000005EEC: BF8CC07F
	s_barrier                                                  // 000000005EF0: BF8A0000
	s_and_saveexec_b64 s[2:3], s[4:5]                          // 000000005EF4: BE822004
	s_cbranch_execz 23                                         // 000000005EF8: BF880017 <_ZN5aiter10DecodeTopKL19topk_per_row_decodeILi1024ELb0ELi4EEEvPKfPKiPiiii+0x4358>
	ds_read_b32 v0, v13 offset:8208                            // 000000005EFC: D86C2010 0000000D
	ds_read_b32 v1, v2 offset:8208                             // 000000005F04: D86C2010 01000002
	s_waitcnt lgkmcnt(0)                                       // 000000005F0C: BF8CC07F
	v_cmp_lt_f32_e64 s[0:1], v0, v1                            // 000000005F10: D0410000 00020300
	s_and_b64 exec, exec, s[0:1]                               // 000000005F18: 86FE007E
	s_cbranch_execz 14                                         // 000000005F1C: BF88000E <_ZN5aiter10DecodeTopKL19topk_per_row_decodeILi1024ELb0ELi4EEEvPKfPKiPiiii+0x4358>
	ds_read_b32 v7, v2                                         // 000000005F20: D86C0000 07000002
	ds_read_b32 v8, v13                                        // 000000005F28: D86C0000 0800000D
	ds_write_b32 v13, v1 offset:8208                           // 000000005F30: D81A2010 0000010D
	ds_write_b32 v2, v0 offset:8208                            // 000000005F38: D81A2010 00000002
	s_waitcnt lgkmcnt(3)                                       // 000000005F40: BF8CC37F
	ds_write_b32 v13, v7                                       // 000000005F44: D81A0000 0000070D
	s_waitcnt lgkmcnt(3)                                       // 000000005F4C: BF8CC37F
	ds_write_b32 v2, v8                                        // 000000005F50: D81A0000 00000802
	s_or_b64 exec, exec, s[2:3]                                // 000000005F58: 87FE027E
	s_waitcnt lgkmcnt(0)                                       // 000000005F5C: BF8CC07F
	s_barrier                                                  // 000000005F60: BF8A0000
	s_and_saveexec_b64 s[2:3], s[6:7]                          // 000000005F64: BE822006
	s_cbranch_execz 23                                         // 000000005F68: BF880017 <_ZN5aiter10DecodeTopKL19topk_per_row_decodeILi1024ELb0ELi4EEEvPKfPKiPiiii+0x43c8>
	ds_read_b32 v0, v13 offset:8208                            // 000000005F6C: D86C2010 0000000D
	ds_read_b32 v1, v3 offset:8208                             // 000000005F74: D86C2010 01000003
	s_waitcnt lgkmcnt(0)                                       // 000000005F7C: BF8CC07F
	v_cmp_lt_f32_e64 s[0:1], v0, v1                            // 000000005F80: D0410000 00020300
	s_and_b64 exec, exec, s[0:1]                               // 000000005F88: 86FE007E
	s_cbranch_execz 14                                         // 000000005F8C: BF88000E <_ZN5aiter10DecodeTopKL19topk_per_row_decodeILi1024ELb0ELi4EEEvPKfPKiPiiii+0x43c8>
	ds_read_b32 v2, v3                                         // 000000005F90: D86C0000 02000003
	ds_read_b32 v7, v13                                        // 000000005F98: D86C0000 0700000D
	ds_write_b32 v13, v1 offset:8208                           // 000000005FA0: D81A2010 0000010D
	ds_write_b32 v3, v0 offset:8208                            // 000000005FA8: D81A2010 00000003
	s_waitcnt lgkmcnt(3)                                       // 000000005FB0: BF8CC37F
	ds_write_b32 v13, v2                                       // 000000005FB4: D81A0000 0000020D
	s_waitcnt lgkmcnt(3)                                       // 000000005FBC: BF8CC37F
	ds_write_b32 v3, v7                                        // 000000005FC0: D81A0000 00000703
	s_or_b64 exec, exec, s[2:3]                                // 000000005FC8: 87FE027E
	s_waitcnt lgkmcnt(0)                                       // 000000005FCC: BF8CC07F
	s_barrier                                                  // 000000005FD0: BF8A0000
	s_and_saveexec_b64 s[2:3], s[10:11]                        // 000000005FD4: BE82200A
	s_cbranch_execz 23                                         // 000000005FD8: BF880017 <_ZN5aiter10DecodeTopKL19topk_per_row_decodeILi1024ELb0ELi4EEEvPKfPKiPiiii+0x4438>
	ds_read_b32 v0, v13 offset:8208                            // 000000005FDC: D86C2010 0000000D
	ds_read_b32 v1, v4 offset:8208                             // 000000005FE4: D86C2010 01000004
	s_waitcnt lgkmcnt(0)                                       // 000000005FEC: BF8CC07F
	v_cmp_lt_f32_e64 s[0:1], v0, v1                            // 000000005FF0: D0410000 00020300
	s_and_b64 exec, exec, s[0:1]                               // 000000005FF8: 86FE007E
	s_cbranch_execz 14                                         // 000000005FFC: BF88000E <_ZN5aiter10DecodeTopKL19topk_per_row_decodeILi1024ELb0ELi4EEEvPKfPKiPiiii+0x4438>
	ds_read_b32 v2, v4                                         // 000000006000: D86C0000 02000004
	ds_read_b32 v3, v13                                        // 000000006008: D86C0000 0300000D
	ds_write_b32 v13, v1 offset:8208                           // 000000006010: D81A2010 0000010D
	ds_write_b32 v4, v0 offset:8208                            // 000000006018: D81A2010 00000004
	s_waitcnt lgkmcnt(3)                                       // 000000006020: BF8CC37F
	ds_write_b32 v13, v2                                       // 000000006024: D81A0000 0000020D
	s_waitcnt lgkmcnt(3)                                       // 00000000602C: BF8CC37F
	ds_write_b32 v4, v3                                        // 000000006030: D81A0000 00000304
	s_or_b64 exec, exec, s[2:3]                                // 000000006038: 87FE027E
	s_waitcnt lgkmcnt(0)                                       // 00000000603C: BF8CC07F
	s_barrier                                                  // 000000006040: BF8A0000
	s_and_saveexec_b64 s[2:3], s[20:21]                        // 000000006044: BE822014
	s_cbranch_execz 23                                         // 000000006048: BF880017 <_ZN5aiter10DecodeTopKL19topk_per_row_decodeILi1024ELb0ELi4EEEvPKfPKiPiiii+0x44a8>
	ds_read_b32 v0, v13 offset:8208                            // 00000000604C: D86C2010 0000000D
	ds_read_b32 v1, v5 offset:8208                             // 000000006054: D86C2010 01000005
	s_waitcnt lgkmcnt(0)                                       // 00000000605C: BF8CC07F
	v_cmp_lt_f32_e64 s[0:1], v0, v1                            // 000000006060: D0410000 00020300
	s_and_b64 exec, exec, s[0:1]                               // 000000006068: 86FE007E
	s_cbranch_execz 14                                         // 00000000606C: BF88000E <_ZN5aiter10DecodeTopKL19topk_per_row_decodeILi1024ELb0ELi4EEEvPKfPKiPiiii+0x44a8>
	ds_read_b32 v2, v5                                         // 000000006070: D86C0000 02000005
	ds_read_b32 v3, v13                                        // 000000006078: D86C0000 0300000D
	ds_write_b32 v13, v1 offset:8208                           // 000000006080: D81A2010 0000010D
	ds_write_b32 v5, v0 offset:8208                            // 000000006088: D81A2010 00000005
	s_waitcnt lgkmcnt(3)                                       // 000000006090: BF8CC37F
	ds_write_b32 v13, v2                                       // 000000006094: D81A0000 0000020D
	s_waitcnt lgkmcnt(3)                                       // 00000000609C: BF8CC37F
	ds_write_b32 v5, v3                                        // 0000000060A0: D81A0000 00000305
	s_or_b64 exec, exec, s[2:3]                                // 0000000060A8: 87FE027E
	s_waitcnt lgkmcnt(0)                                       // 0000000060AC: BF8CC07F
	s_barrier                                                  // 0000000060B0: BF8A0000
	s_and_saveexec_b64 s[2:3], s[14:15]                        // 0000000060B4: BE82200E
	s_cbranch_execz 23                                         // 0000000060B8: BF880017 <_ZN5aiter10DecodeTopKL19topk_per_row_decodeILi1024ELb0ELi4EEEvPKfPKiPiiii+0x4518>
	ds_read_b32 v0, v13 offset:8208                            // 0000000060BC: D86C2010 0000000D
	ds_read_b32 v1, v6 offset:8208                             // 0000000060C4: D86C2010 01000006
	s_waitcnt lgkmcnt(0)                                       // 0000000060CC: BF8CC07F
	v_cmp_lt_f32_e64 s[0:1], v0, v1                            // 0000000060D0: D0410000 00020300
	s_and_b64 exec, exec, s[0:1]                               // 0000000060D8: 86FE007E
	s_cbranch_execz 14                                         // 0000000060DC: BF88000E <_ZN5aiter10DecodeTopKL19topk_per_row_decodeILi1024ELb0ELi4EEEvPKfPKiPiiii+0x4518>
	ds_read_b32 v2, v6                                         // 0000000060E0: D86C0000 02000006
	ds_read_b32 v3, v13                                        // 0000000060E8: D86C0000 0300000D
	ds_write_b32 v13, v1 offset:8208                           // 0000000060F0: D81A2010 0000010D
	ds_write_b32 v6, v0 offset:8208                            // 0000000060F8: D81A2010 00000006
	s_waitcnt lgkmcnt(3)                                       // 000000006100: BF8CC37F
	ds_write_b32 v13, v2                                       // 000000006104: D81A0000 0000020D
	s_waitcnt lgkmcnt(3)                                       // 00000000610C: BF8CC37F
	ds_write_b32 v6, v3                                        // 000000006110: D81A0000 00000306
	s_or_b64 exec, exec, s[2:3]                                // 000000006118: 87FE027E
	s_waitcnt lgkmcnt(0)                                       // 00000000611C: BF8CC07F
	s_barrier                                                  // 000000006120: BF8A0000
	s_and_b64 exec, exec, vcc                                  // 000000006124: 86FE6A7E
	s_cbranch_execz 15                                         // 000000006128: BF88000F <_ZN5aiter10DecodeTopKL19topk_per_row_decodeILi1024ELb0ELi4EEEvPKfPKiPiiii+0x4568>
	v_add_u32_e32 v0, v10, v12                                 // 00000000612C: 6800190A
	s_movk_i32 s0, 0x800                                       // 000000006130: B0000800
	v_cmp_gt_i32_e32 vcc, s0, v0                               // 000000006134: 7D880000
	s_and_b64 exec, exec, vcc                                  // 000000006138: 86FE6A7E
	s_cbranch_execz 10                                         // 00000000613C: BF88000A <_ZN5aiter10DecodeTopKL19topk_per_row_decodeILi1024ELb0ELi4EEEvPKfPKiPiiii+0x4568>
	ds_read_b32 v1, v13                                        // 000000006140: D86C0000 0100000D
	v_lshlrev_b32_e32 v0, 2, v0                                // 000000006148: 24000082
	s_waitcnt lgkmcnt(0)                                       // 00000000614C: BF8CC07F
	ds_write_b32 v0, v1 offset:16448                           // 000000006150: D81A4040 00000100
	s_or_b64 exec, exec, s[24:25]                              // 000000006158: 87FE187E
	s_mov_b64 vcc, exec                                        // 00000000615C: BEEA017E
	s_cbranch_execz 4                                          // 000000006160: BF880004 <_ZN5aiter10DecodeTopKL19topk_per_row_decodeILi1024ELb0ELi4EEEvPKfPKiPiiii+0x4574>
	s_branch 1725                                              // 000000006164: BF8206BD <_ZN5aiter10DecodeTopKL19topk_per_row_decodeILi1024ELb0ELi4EEEvPKfPKiPiiii+0x605c>
	s_or_b64 exec, exec, s[24:25]                              // 000000006168: 87FE187E
	s_mov_b64 vcc, exec                                        // 00000000616C: BEEA017E
	s_cbranch_execnz 1722                                      // 000000006170: BF8906BA <_ZN5aiter10DecodeTopKL19topk_per_row_decodeILi1024ELb0ELi4EEEvPKfPKiPiiii+0x605c>
	s_movk_i32 s0, 0x100                                       // 000000006174: B0000100
	v_cmp_gt_u32_e32 vcc, s0, v12                              // 000000006178: 7D981800
	s_and_saveexec_b64 s[22:23], vcc                           // 00000000617C: BE96206A
	s_cbranch_execz 1717                                       // 000000006180: BF8806B5 <_ZN5aiter10DecodeTopKL19topk_per_row_decodeILi1024ELb0ELi4EEEvPKfPKiPiiii+0x6058>
	v_cmp_gt_i32_e32 vcc, s38, v12                             // 000000006184: 7D881826
	v_mov_b32_e32 v4, -1                                       // 000000006188: 7E0802C1
	v_mov_b32_e32 v1, 0xff7fffff                               // 00000000618C: 7E0202FF FF7FFFFF
	s_and_saveexec_b64 s[0:1], vcc                             // 000000006194: BE80206A
	s_cbranch_execz 4                                          // 000000006198: BF880004 <_ZN5aiter10DecodeTopKL19topk_per_row_decodeILi1024ELb0ELi4EEEvPKfPKiPiiii+0x45ac>
	ds_read_b32 v1, v13 offset:8208                            // 00000000619C: D86C2010 0100000D
	ds_read_b32 v4, v13                                        // 0000000061A4: D86C0000 0400000D
	s_or_b64 exec, exec, s[0:1]                                // 0000000061AC: 87FE007E
	v_and_b32_e32 v2, 63, v12                                  // 0000000061B0: 260418BF
	s_waitcnt lgkmcnt(0)                                       // 0000000061B4: BF8CC07F
	v_and_b32_e32 v0, 64, v12                                  // 0000000061B8: 260018C0
	v_cmp_eq_u32_e64 s[2:3], 0, v0                             // 0000000061BC: D0CA0002 00020080
	v_cmp_ne_u32_e64 s[14:15], 0, v0                           // 0000000061C4: D0CD000E 00020080
	v_mbcnt_lo_u32_b32 v0, -1, 0                               // 0000000061CC: D28C0000 000100C1
	v_mbcnt_hi_u32_b32 v0, -1, v0                              // 0000000061D4: D28D0000 000200C1
	v_and_b32_e32 v3, 64, v0                                   // 0000000061DC: 260600C0
	v_xor_b32_e32 v7, 1, v2                                    // 0000000061E0: 2A0E0481
	v_or_b32_e32 v0, v3, v7                                    // 0000000061E4: 28000F03
	v_lshlrev_b32_e32 v0, 2, v0                                // 0000000061E8: 24000082
	ds_bpermute_b32 v5, v0, v1                                 // 0000000061EC: D87E0000 05000100
	ds_bpermute_b32 v6, v0, v4                                 // 0000000061F4: D87E0000 06000400
	v_and_b32_e32 v8, 2, v12                                   // 0000000061FC: 26101882
	v_cmp_ne_u32_e64 s[0:1], 0, v8                             // 000000006200: D0CD0000 00021080
	s_xor_b64 s[4:5], s[2:3], s[0:1]                           // 000000006208: 88840002
	v_cmp_lt_u32_e64 s[0:1], v2, v7                            // 00000000620C: D0C90000 00020F02
	s_and_saveexec_b64 s[10:11], s[4:5]                        // 000000006214: BE8A2004
	s_xor_b64 s[10:11], exec, s[10:11]                         // 000000006218: 888A0A7E
	s_cbranch_execz 17                                         // 00000000621C: BF880011 <_ZN5aiter10DecodeTopKL19topk_per_row_decodeILi1024ELb0ELi4EEEvPKfPKiPiiii+0x4664>
	s_waitcnt lgkmcnt(1)                                       // 000000006220: BF8CC17F
	v_cmp_lt_f32_e64 s[4:5], v1, v5                            // 000000006224: D0410004 00020B01
	s_nop 1                                                    // 00000000622C: BF800001
	v_cndmask_b32_e64 v7, 0, 1, s[4:5]                         // 000000006230: D1000007 00110280
	v_cmp_gt_f32_e64 s[4:5], v1, v5                            // 000000006238: D0440004 00020B01
	s_nop 1                                                    // 000000006240: BF800001
	v_cndmask_b32_e64 v8, 0, 1, s[4:5]                         // 000000006244: D1000008 00110280
	v_cndmask_b32_e64 v7, v8, v7, s[0:1]                       // 00000000624C: D1000007 00020F08
	v_and_b32_e32 v7, 1, v7                                    // 000000006254: 260E0E81
	v_cmp_eq_u32_e64 s[4:5], 1, v7                             // 000000006258: D0CA0004 00020E81
	s_and_b64 s[6:7], s[4:5], exec                             // 000000006260: 86867E04
	s_andn2_saveexec_b64 s[10:11], s[10:11]                    // 000000006264: BE8A230A
	s_cbranch_execz 19                                         // 000000006268: BF880013 <_ZN5aiter10DecodeTopKL19topk_per_row_decodeILi1024ELb0ELi4EEEvPKfPKiPiiii+0x46b8>
	s_waitcnt lgkmcnt(1)                                       // 00000000626C: BF8CC17F
	v_cmp_gt_f32_e64 s[4:5], v1, v5                            // 000000006270: D0440004 00020B01
	s_nop 1                                                    // 000000006278: BF800001
	v_cndmask_b32_e64 v7, 0, 1, s[4:5]                         // 00000000627C: D1000007 00110280
	v_cmp_lt_f32_e64 s[4:5], v1, v5                            // 000000006284: D0410004 00020B01
	s_nop 1                                                    // 00000000628C: BF800001
	v_cndmask_b32_e64 v8, 0, 1, s[4:5]                         // 000000006290: D1000008 00110280
	v_cndmask_b32_e64 v7, v8, v7, s[0:1]                       // 000000006298: D1000007 00020F08
	v_and_b32_e32 v7, 1, v7                                    // 0000000062A0: 260E0E81
	v_cmp_eq_u32_e64 s[4:5], 1, v7                             // 0000000062A4: D0CA0004 00020E81
	s_andn2_b64 s[6:7], s[6:7], exec                           // 0000000062AC: 89867E06
	s_and_b64 s[4:5], s[4:5], exec                             // 0000000062B0: 86847E04
	s_or_b64 s[6:7], s[6:7], s[4:5]                            // 0000000062B4: 87860406
	s_or_b64 exec, exec, s[10:11]                              // 0000000062B8: 87FE0A7E
	s_waitcnt lgkmcnt(0)                                       // 0000000062BC: BF8CC07F
	v_cndmask_b32_e64 v4, v4, v6, s[6:7]                       // 0000000062C0: D1000004 001A0D04
	v_cndmask_b32_e64 v5, v1, v5, s[6:7]                       // 0000000062C8: D1000005 001A0B01
	v_and_b32_e32 v8, 4, v12                                   // 0000000062D0: 26101884
	v_xor_b32_e32 v9, 2, v2                                    // 0000000062D4: 2A120482
	v_or_b32_e32 v1, v3, v9                                    // 0000000062D8: 28021303
	v_lshlrev_b32_e32 v1, 2, v1                                // 0000000062DC: 24020282
	ds_bpermute_b32 v6, v1, v5                                 // 0000000062E0: D87E0000 06000501
	ds_bpermute_b32 v7, v1, v4                                 // 0000000062E8: D87E0000 07000401
	v_cmp_ne_u32_e64 s[4:5], 0, v8                             // 0000000062F0: D0CD0004 00021080
	s_xor_b64 s[4:5], s[14:15], s[4:5]                         // 0000000062F8: 8884040E
	s_xor_b64 s[10:11], s[4:5], -1                             // 0000000062FC: 888AC104
	v_cmp_lt_u32_e64 s[4:5], v2, v9                            // 000000006300: D0C90004 00021302
	s_and_saveexec_b64 s[6:7], s[10:11]                        // 000000006308: BE86200A
	s_xor_b64 s[18:19], exec, s[6:7]                           // 00000000630C: 8892067E
	s_cbranch_execz 17                                         // 000000006310: BF880011 <_ZN5aiter10DecodeTopKL19topk_per_row_decodeILi1024ELb0ELi4EEEvPKfPKiPiiii+0x4758>
	s_waitcnt lgkmcnt(1)                                       // 000000006314: BF8CC17F
	v_cmp_lt_f32_e64 s[6:7], v5, v6                            // 000000006318: D0410006 00020D05
	s_nop 1                                                    // 000000006320: BF800001
	v_cndmask_b32_e64 v8, 0, 1, s[6:7]                         // 000000006324: D1000008 00190280
	v_cmp_gt_f32_e64 s[6:7], v5, v6                            // 00000000632C: D0440006 00020D05
	s_nop 1                                                    // 000000006334: BF800001
	v_cndmask_b32_e64 v9, 0, 1, s[6:7]                         // 000000006338: D1000009 00190280
	v_cndmask_b32_e64 v8, v9, v8, s[4:5]                       // 000000006340: D1000008 00121109
	v_and_b32_e32 v8, 1, v8                                    // 000000006348: 26101081
	v_cmp_eq_u32_e64 s[6:7], 1, v8                             // 00000000634C: D0CA0006 00021081
	s_and_b64 s[16:17], s[6:7], exec                           // 000000006354: 86907E06
	s_andn2_saveexec_b64 s[18:19], s[18:19]                    // 000000006358: BE922312
	s_cbranch_execz 19                                         // 00000000635C: BF880013 <_ZN5aiter10DecodeTopKL19topk_per_row_decodeILi1024ELb0ELi4EEEvPKfPKiPiiii+0x47ac>
	s_waitcnt lgkmcnt(1)                                       // 000000006360: BF8CC17F
	v_cmp_gt_f32_e64 s[6:7], v5, v6                            // 000000006364: D0440006 00020D05
	s_nop 1                                                    // 00000000636C: BF800001
	v_cndmask_b32_e64 v8, 0, 1, s[6:7]                         // 000000006370: D1000008 00190280
	v_cmp_lt_f32_e64 s[6:7], v5, v6                            // 000000006378: D0410006 00020D05
	s_nop 1                                                    // 000000006380: BF800001
	v_cndmask_b32_e64 v9, 0, 1, s[6:7]                         // 000000006384: D1000009 00190280
	v_cndmask_b32_e64 v8, v9, v8, s[4:5]                       // 00000000638C: D1000008 00121109
	v_and_b32_e32 v8, 1, v8                                    // 000000006394: 26101081
	v_cmp_eq_u32_e64 s[6:7], 1, v8                             // 000000006398: D0CA0006 00021081
	s_andn2_b64 s[16:17], s[16:17], exec                       // 0000000063A0: 89907E10
	s_and_b64 s[6:7], s[6:7], exec                             // 0000000063A4: 86867E06
	s_or_b64 s[16:17], s[16:17], s[6:7]                        // 0000000063A8: 87900610
	s_or_b64 exec, exec, s[18:19]                              // 0000000063AC: 87FE127E
	s_waitcnt lgkmcnt(0)                                       // 0000000063B0: BF8CC07F
	v_cndmask_b32_e64 v4, v4, v7, s[16:17]                     // 0000000063B4: D1000004 00420F04
	v_cndmask_b32_e64 v6, v5, v6, s[16:17]                     // 0000000063BC: D1000006 00420D05
	ds_bpermute_b32 v7, v0, v6                                 // 0000000063C4: D87E0000 07000600
	ds_bpermute_b32 v5, v0, v4                                 // 0000000063CC: D87E0000 05000400
	s_and_saveexec_b64 s[6:7], s[10:11]                        // 0000000063D4: BE86200A
	s_xor_b64 s[10:11], exec, s[6:7]                           // 0000000063D8: 888A067E
	s_cbranch_execz 17                                         // 0000000063DC: BF880011 <_ZN5aiter10DecodeTopKL19topk_per_row_decodeILi1024ELb0ELi4EEEvPKfPKiPiiii+0x4824>
	s_waitcnt lgkmcnt(1)                                       // 0000000063E0: BF8CC17F
	v_cmp_lt_f32_e64 s[6:7], v6, v7                            // 0000000063E4: D0410006 00020F06
	s_nop 1                                                    // 0000000063EC: BF800001
	v_cndmask_b32_e64 v8, 0, 1, s[6:7]                         // 0000000063F0: D1000008 00190280
	v_cmp_gt_f32_e64 s[6:7], v6, v7                            // 0000000063F8: D0440006 00020F06
	s_nop 1                                                    // 000000006400: BF800001
	v_cndmask_b32_e64 v9, 0, 1, s[6:7]                         // 000000006404: D1000009 00190280
	v_cndmask_b32_e64 v8, v9, v8, s[0:1]                       // 00000000640C: D1000008 00021109
	v_and_b32_e32 v8, 1, v8                                    // 000000006414: 26101081
	v_cmp_eq_u32_e64 s[6:7], 1, v8                             // 000000006418: D0CA0006 00021081
	s_and_b64 s[16:17], s[6:7], exec                           // 000000006420: 86907E06
	s_andn2_saveexec_b64 s[10:11], s[10:11]                    // 000000006424: BE8A230A
	s_cbranch_execz 19                                         // 000000006428: BF880013 <_ZN5aiter10DecodeTopKL19topk_per_row_decodeILi1024ELb0ELi4EEEvPKfPKiPiiii+0x4878>
	s_waitcnt lgkmcnt(1)                                       // 00000000642C: BF8CC17F
	v_cmp_gt_f32_e64 s[6:7], v6, v7                            // 000000006430: D0440006 00020F06
	s_nop 1                                                    // 000000006438: BF800001
	v_cndmask_b32_e64 v8, 0, 1, s[6:7]                         // 00000000643C: D1000008 00190280
	v_cmp_lt_f32_e64 s[6:7], v6, v7                            // 000000006444: D0410006 00020F06
	s_nop 1                                                    // 00000000644C: BF800001
	v_cndmask_b32_e64 v9, 0, 1, s[6:7]                         // 000000006450: D1000009 00190280
	v_cndmask_b32_e64 v8, v9, v8, s[0:1]                       // 000000006458: D1000008 00021109
	v_and_b32_e32 v8, 1, v8                                    // 000000006460: 26101081
	v_cmp_eq_u32_e64 s[6:7], 1, v8                             // 000000006464: D0CA0006 00021081
	s_andn2_b64 s[16:17], s[16:17], exec                       // 00000000646C: 89907E10
	s_and_b64 s[6:7], s[6:7], exec                             // 000000006470: 86867E06
	s_or_b64 s[16:17], s[16:17], s[6:7]                        // 000000006474: 87900610
	s_or_b64 exec, exec, s[10:11]                              // 000000006478: 87FE0A7E
	s_waitcnt lgkmcnt(0)                                       // 00000000647C: BF8CC07F
	v_cndmask_b32_e64 v5, v4, v5, s[16:17]                     // 000000006480: D1000005 00420B04
	v_cndmask_b32_e64 v6, v6, v7, s[16:17]                     // 000000006488: D1000006 00420F06
	v_and_b32_e32 v9, 8, v12                                   // 000000006490: 26121888
	v_xor_b32_e32 v11, 4, v2                                   // 000000006494: 2A160484
	v_or_b32_e32 v4, v3, v11                                   // 000000006498: 28081703
	v_lshlrev_b32_e32 v4, 2, v4                                // 00000000649C: 24080882
	ds_bpermute_b32 v7, v4, v6                                 // 0000000064A0: D87E0000 07000604
	ds_bpermute_b32 v8, v4, v5                                 // 0000000064A8: D87E0000 08000504
	v_cmp_ne_u32_e64 s[6:7], 0, v9                             // 0000000064B0: D0CD0006 00021280
	s_xor_b64 s[6:7], s[14:15], s[6:7]                         // 0000000064B8: 8886060E
	s_xor_b64 s[16:17], s[6:7], -1                             // 0000000064BC: 8890C106
	v_cmp_lt_u32_e64 s[6:7], v2, v11                           // 0000000064C0: D0C90006 00021702
	s_and_saveexec_b64 s[10:11], s[16:17]                      // 0000000064C8: BE8A2010
	s_xor_b64 s[20:21], exec, s[10:11]                         // 0000000064CC: 88940A7E
	s_cbranch_execz 17                                         // 0000000064D0: BF880011 <_ZN5aiter10DecodeTopKL19topk_per_row_decodeILi1024ELb0ELi4EEEvPKfPKiPiiii+0x4918>
	s_waitcnt lgkmcnt(1)                                       // 0000000064D4: BF8CC17F
	v_cmp_lt_f32_e64 s[10:11], v6, v7                          // 0000000064D8: D041000A 00020F06
	s_nop 1                                                    // 0000000064E0: BF800001
	v_cndmask_b32_e64 v9, 0, 1, s[10:11]                       // 0000000064E4: D1000009 00290280
	v_cmp_gt_f32_e64 s[10:11], v6, v7                          // 0000000064EC: D044000A 00020F06
	s_nop 1                                                    // 0000000064F4: BF800001
	v_cndmask_b32_e64 v11, 0, 1, s[10:11]                      // 0000000064F8: D100000B 00290280
	v_cndmask_b32_e64 v9, v11, v9, s[6:7]                      // 000000006500: D1000009 001A130B
	v_and_b32_e32 v9, 1, v9                                    // 000000006508: 26121281
	v_cmp_eq_u32_e64 s[10:11], 1, v9                           // 00000000650C: D0CA000A 00021281
	s_and_b64 s[18:19], s[10:11], exec                         // 000000006514: 86927E0A
	s_andn2_saveexec_b64 s[20:21], s[20:21]                    // 000000006518: BE942314
	s_cbranch_execz 19                                         // 00000000651C: BF880013 <_ZN5aiter10DecodeTopKL19topk_per_row_decodeILi1024ELb0ELi4EEEvPKfPKiPiiii+0x496c>
	s_waitcnt lgkmcnt(1)                                       // 000000006520: BF8CC17F
	v_cmp_gt_f32_e64 s[10:11], v6, v7                          // 000000006524: D044000A 00020F06
	s_nop 1                                                    // 00000000652C: BF800001
	v_cndmask_b32_e64 v9, 0, 1, s[10:11]                       // 000000006530: D1000009 00290280
	v_cmp_lt_f32_e64 s[10:11], v6, v7                          // 000000006538: D041000A 00020F06
	s_nop 1                                                    // 000000006540: BF800001
	v_cndmask_b32_e64 v11, 0, 1, s[10:11]                      // 000000006544: D100000B 00290280
	v_cndmask_b32_e64 v9, v11, v9, s[6:7]                      // 00000000654C: D1000009 001A130B
	v_and_b32_e32 v9, 1, v9                                    // 000000006554: 26121281
	v_cmp_eq_u32_e64 s[10:11], 1, v9                           // 000000006558: D0CA000A 00021281
	s_andn2_b64 s[18:19], s[18:19], exec                       // 000000006560: 89927E12
	s_and_b64 s[10:11], s[10:11], exec                         // 000000006564: 868A7E0A
	s_or_b64 s[18:19], s[18:19], s[10:11]                      // 000000006568: 87920A12
	s_or_b64 exec, exec, s[20:21]                              // 00000000656C: 87FE147E
	s_waitcnt lgkmcnt(0)                                       // 000000006570: BF8CC07F
	v_cndmask_b32_e64 v5, v5, v8, s[18:19]                     // 000000006574: D1000005 004A1105
	v_cndmask_b32_e64 v6, v6, v7, s[18:19]                     // 00000000657C: D1000006 004A0F06
	ds_bpermute_b32 v7, v1, v6                                 // 000000006584: D87E0000 07000601
	ds_bpermute_b32 v8, v1, v5                                 // 00000000658C: D87E0000 08000501
	s_and_saveexec_b64 s[10:11], s[16:17]                      // 000000006594: BE8A2010
	s_xor_b64 s[20:21], exec, s[10:11]                         // 000000006598: 88940A7E
	s_cbranch_execz 17                                         // 00000000659C: BF880011 <_ZN5aiter10DecodeTopKL19topk_per_row_decodeILi1024ELb0ELi4EEEvPKfPKiPiiii+0x49e4>
	s_waitcnt lgkmcnt(1)                                       // 0000000065A0: BF8CC17F
	v_cmp_lt_f32_e64 s[10:11], v6, v7                          // 0000000065A4: D041000A 00020F06
	s_nop 1                                                    // 0000000065AC: BF800001
	v_cndmask_b32_e64 v9, 0, 1, s[10:11]                       // 0000000065B0: D1000009 00290280
	v_cmp_gt_f32_e64 s[10:11], v6, v7                          // 0000000065B8: D044000A 00020F06
	s_nop 1                                                    // 0000000065C0: BF800001
	v_cndmask_b32_e64 v11, 0, 1, s[10:11]                      // 0000000065C4: D100000B 00290280
	v_cndmask_b32_e64 v9, v11, v9, s[4:5]                      // 0000000065CC: D1000009 0012130B
	v_and_b32_e32 v9, 1, v9                                    // 0000000065D4: 26121281
	v_cmp_eq_u32_e64 s[10:11], 1, v9                           // 0000000065D8: D0CA000A 00021281
	s_and_b64 s[18:19], s[10:11], exec                         // 0000000065E0: 86927E0A
	s_andn2_saveexec_b64 s[20:21], s[20:21]                    // 0000000065E4: BE942314
	s_cbranch_execz 19                                         // 0000000065E8: BF880013 <_ZN5aiter10DecodeTopKL19topk_per_row_decodeILi1024ELb0ELi4EEEvPKfPKiPiiii+0x4a38>
	s_waitcnt lgkmcnt(1)                                       // 0000000065EC: BF8CC17F
	v_cmp_gt_f32_e64 s[10:11], v6, v7                          // 0000000065F0: D044000A 00020F06
	s_nop 1                                                    // 0000000065F8: BF800001
	v_cndmask_b32_e64 v9, 0, 1, s[10:11]                       // 0000000065FC: D1000009 00290280
	v_cmp_lt_f32_e64 s[10:11], v6, v7                          // 000000006604: D041000A 00020F06
	s_nop 1                                                    // 00000000660C: BF800001
	v_cndmask_b32_e64 v11, 0, 1, s[10:11]                      // 000000006610: D100000B 00290280
	v_cndmask_b32_e64 v9, v11, v9, s[4:5]                      // 000000006618: D1000009 0012130B
	v_and_b32_e32 v9, 1, v9                                    // 000000006620: 26121281
	v_cmp_eq_u32_e64 s[10:11], 1, v9                           // 000000006624: D0CA000A 00021281
	s_andn2_b64 s[18:19], s[18:19], exec                       // 00000000662C: 89927E12
	s_and_b64 s[10:11], s[10:11], exec                         // 000000006630: 868A7E0A
	s_or_b64 s[18:19], s[18:19], s[10:11]                      // 000000006634: 87920A12
	s_or_b64 exec, exec, s[20:21]                              // 000000006638: 87FE147E
	s_waitcnt lgkmcnt(0)                                       // 00000000663C: BF8CC07F
	v_cndmask_b32_e64 v5, v5, v8, s[18:19]                     // 000000006640: D1000005 004A1105
	v_cndmask_b32_e64 v7, v6, v7, s[18:19]                     // 000000006648: D1000007 004A0F06
	ds_bpermute_b32 v8, v0, v7                                 // 000000006650: D87E0000 08000700
	ds_bpermute_b32 v6, v0, v5                                 // 000000006658: D87E0000 06000500
	s_and_saveexec_b64 s[10:11], s[16:17]                      // 000000006660: BE8A2010
	s_xor_b64 s[16:17], exec, s[10:11]                         // 000000006664: 88900A7E
	s_cbranch_execz 17                                         // 000000006668: BF880011 <_ZN5aiter10DecodeTopKL19topk_per_row_decodeILi1024ELb0ELi4EEEvPKfPKiPiiii+0x4ab0>
	s_waitcnt lgkmcnt(1)                                       // 00000000666C: BF8CC17F
	v_cmp_lt_f32_e64 s[10:11], v7, v8                          // 000000006670: D041000A 00021107
	s_nop 1                                                    // 000000006678: BF800001
	v_cndmask_b32_e64 v9, 0, 1, s[10:11]                       // 00000000667C: D1000009 00290280
	v_cmp_gt_f32_e64 s[10:11], v7, v8                          // 000000006684: D044000A 00021107
	s_nop 1                                                    // 00000000668C: BF800001
	v_cndmask_b32_e64 v11, 0, 1, s[10:11]                      // 000000006690: D100000B 00290280
	v_cndmask_b32_e64 v9, v11, v9, s[0:1]                      // 000000006698: D1000009 0002130B
	v_and_b32_e32 v9, 1, v9                                    // 0000000066A0: 26121281
	v_cmp_eq_u32_e64 s[10:11], 1, v9                           // 0000000066A4: D0CA000A 00021281
	s_and_b64 s[18:19], s[10:11], exec                         // 0000000066AC: 86927E0A
	s_andn2_saveexec_b64 s[16:17], s[16:17]                    // 0000000066B0: BE902310
	s_cbranch_execz 19                                         // 0000000066B4: BF880013 <_ZN5aiter10DecodeTopKL19topk_per_row_decodeILi1024ELb0ELi4EEEvPKfPKiPiiii+0x4b04>
	s_waitcnt lgkmcnt(1)                                       // 0000000066B8: BF8CC17F
	v_cmp_gt_f32_e64 s[10:11], v7, v8                          // 0000000066BC: D044000A 00021107
	s_nop 1                                                    // 0000000066C4: BF800001
	v_cndmask_b32_e64 v9, 0, 1, s[10:11]                       // 0000000066C8: D1000009 00290280
	v_cmp_lt_f32_e64 s[10:11], v7, v8                          // 0000000066D0: D041000A 00021107
	s_nop 1                                                    // 0000000066D8: BF800001
	v_cndmask_b32_e64 v11, 0, 1, s[10:11]                      // 0000000066DC: D100000B 00290280
	v_cndmask_b32_e64 v9, v11, v9, s[0:1]                      // 0000000066E4: D1000009 0002130B
	v_and_b32_e32 v9, 1, v9                                    // 0000000066EC: 26121281
	v_cmp_eq_u32_e64 s[10:11], 1, v9                           // 0000000066F0: D0CA000A 00021281
	s_andn2_b64 s[18:19], s[18:19], exec                       // 0000000066F8: 89927E12
	s_and_b64 s[10:11], s[10:11], exec                         // 0000000066FC: 868A7E0A
	s_or_b64 s[18:19], s[18:19], s[10:11]                      // 000000006700: 87920A12
	s_or_b64 exec, exec, s[16:17]                              // 000000006704: 87FE107E
	s_waitcnt lgkmcnt(0)                                       // 000000006708: BF8CC07F
	v_cndmask_b32_e64 v6, v5, v6, s[18:19]                     // 00000000670C: D1000006 004A0D05
	v_cndmask_b32_e64 v7, v7, v8, s[18:19]                     // 000000006714: D1000007 004A1107
	v_and_b32_e32 v11, 16, v12                                 // 00000000671C: 26161890
	v_xor_b32_e32 v14, 8, v2                                   // 000000006720: 2A1C0488
	v_or_b32_e32 v5, v3, v14                                   // 000000006724: 280A1D03
	v_lshlrev_b32_e32 v5, 2, v5                                // 000000006728: 240A0A82
	ds_bpermute_b32 v8, v5, v7                                 // 00000000672C: D87E0000 08000705
	ds_bpermute_b32 v9, v5, v6                                 // 000000006734: D87E0000 09000605
	v_cmp_ne_u32_e64 s[10:11], 0, v11                          // 00000000673C: D0CD000A 00021680
	s_xor_b64 s[10:11], s[14:15], s[10:11]                     // 000000006744: 888A0A0E
	s_xor_b64 s[18:19], s[10:11], -1                           // 000000006748: 8892C10A
	v_cmp_lt_u32_e64 s[10:11], v2, v14                         // 00000000674C: D0C9000A 00021D02
	s_and_saveexec_b64 s[16:17], s[18:19]                      // 000000006754: BE902012
	s_xor_b64 s[24:25], exec, s[16:17]                         // 000000006758: 8898107E
	s_cbranch_execz 17                                         // 00000000675C: BF880011 <_ZN5aiter10DecodeTopKL19topk_per_row_decodeILi1024ELb0ELi4EEEvPKfPKiPiiii+0x4ba4>
	s_waitcnt lgkmcnt(1)                                       // 000000006760: BF8CC17F
	v_cmp_lt_f32_e64 s[16:17], v7, v8                          // 000000006764: D0410010 00021107
	s_nop 1                                                    // 00000000676C: BF800001
	v_cndmask_b32_e64 v11, 0, 1, s[16:17]                      // 000000006770: D100000B 00410280
	v_cmp_gt_f32_e64 s[16:17], v7, v8                          // 000000006778: D0440010 00021107
	s_nop 1                                                    // 000000006780: BF800001
	v_cndmask_b32_e64 v14, 0, 1, s[16:17]                      // 000000006784: D100000E 00410280
	v_cndmask_b32_e64 v11, v14, v11, s[10:11]                  // 00000000678C: D100000B 002A170E
	v_and_b32_e32 v11, 1, v11                                  // 000000006794: 26161681
	v_cmp_eq_u32_e64 s[16:17], 1, v11                          // 000000006798: D0CA0010 00021681
	s_and_b64 s[20:21], s[16:17], exec                         // 0000000067A0: 86947E10
	s_andn2_saveexec_b64 s[24:25], s[24:25]                    // 0000000067A4: BE982318
	s_cbranch_execz 19                                         // 0000000067A8: BF880013 <_ZN5aiter10DecodeTopKL19topk_per_row_decodeILi1024ELb0ELi4EEEvPKfPKiPiiii+0x4bf8>
	s_waitcnt lgkmcnt(1)                                       // 0000000067AC: BF8CC17F
	v_cmp_gt_f32_e64 s[16:17], v7, v8                          // 0000000067B0: D0440010 00021107
	s_nop 1                                                    // 0000000067B8: BF800001
	v_cndmask_b32_e64 v11, 0, 1, s[16:17]                      // 0000000067BC: D100000B 00410280
	v_cmp_lt_f32_e64 s[16:17], v7, v8                          // 0000000067C4: D0410010 00021107
	s_nop 1                                                    // 0000000067CC: BF800001
	v_cndmask_b32_e64 v14, 0, 1, s[16:17]                      // 0000000067D0: D100000E 00410280
	v_cndmask_b32_e64 v11, v14, v11, s[10:11]                  // 0000000067D8: D100000B 002A170E
	v_and_b32_e32 v11, 1, v11                                  // 0000000067E0: 26161681
	v_cmp_eq_u32_e64 s[16:17], 1, v11                          // 0000000067E4: D0CA0010 00021681
	s_andn2_b64 s[20:21], s[20:21], exec                       // 0000000067EC: 89947E14
	s_and_b64 s[16:17], s[16:17], exec                         // 0000000067F0: 86907E10
	s_or_b64 s[20:21], s[20:21], s[16:17]                      // 0000000067F4: 87941014
	s_or_b64 exec, exec, s[24:25]                              // 0000000067F8: 87FE187E
	s_waitcnt lgkmcnt(0)                                       // 0000000067FC: BF8CC07F
	v_cndmask_b32_e64 v6, v6, v9, s[20:21]                     // 000000006800: D1000006 00521306
	v_cndmask_b32_e64 v7, v7, v8, s[20:21]                     // 000000006808: D1000007 00521107
	ds_bpermute_b32 v8, v4, v7                                 // 000000006810: D87E0000 08000704
	ds_bpermute_b32 v9, v4, v6                                 // 000000006818: D87E0000 09000604
	s_and_saveexec_b64 s[16:17], s[18:19]                      // 000000006820: BE902012
	s_xor_b64 s[24:25], exec, s[16:17]                         // 000000006824: 8898107E
	s_cbranch_execz 17                                         // 000000006828: BF880011 <_ZN5aiter10DecodeTopKL19topk_per_row_decodeILi1024ELb0ELi4EEEvPKfPKiPiiii+0x4c70>
	s_waitcnt lgkmcnt(1)                                       // 00000000682C: BF8CC17F
	v_cmp_lt_f32_e64 s[16:17], v7, v8                          // 000000006830: D0410010 00021107
	s_nop 1                                                    // 000000006838: BF800001
	v_cndmask_b32_e64 v11, 0, 1, s[16:17]                      // 00000000683C: D100000B 00410280
	v_cmp_gt_f32_e64 s[16:17], v7, v8                          // 000000006844: D0440010 00021107
	s_nop 1                                                    // 00000000684C: BF800001
	v_cndmask_b32_e64 v14, 0, 1, s[16:17]                      // 000000006850: D100000E 00410280
	v_cndmask_b32_e64 v11, v14, v11, s[6:7]                    // 000000006858: D100000B 001A170E
	v_and_b32_e32 v11, 1, v11                                  // 000000006860: 26161681
	v_cmp_eq_u32_e64 s[16:17], 1, v11                          // 000000006864: D0CA0010 00021681
	s_and_b64 s[20:21], s[16:17], exec                         // 00000000686C: 86947E10
	s_andn2_saveexec_b64 s[24:25], s[24:25]                    // 000000006870: BE982318
	s_cbranch_execz 19                                         // 000000006874: BF880013 <_ZN5aiter10DecodeTopKL19topk_per_row_decodeILi1024ELb0ELi4EEEvPKfPKiPiiii+0x4cc4>
	s_waitcnt lgkmcnt(1)                                       // 000000006878: BF8CC17F
	v_cmp_gt_f32_e64 s[16:17], v7, v8                          // 00000000687C: D0440010 00021107
	s_nop 1                                                    // 000000006884: BF800001
	v_cndmask_b32_e64 v11, 0, 1, s[16:17]                      // 000000006888: D100000B 00410280
	v_cmp_lt_f32_e64 s[16:17], v7, v8                          // 000000006890: D0410010 00021107
	s_nop 1                                                    // 000000006898: BF800001
	v_cndmask_b32_e64 v14, 0, 1, s[16:17]                      // 00000000689C: D100000E 00410280
	v_cndmask_b32_e64 v11, v14, v11, s[6:7]                    // 0000000068A4: D100000B 001A170E
	v_and_b32_e32 v11, 1, v11                                  // 0000000068AC: 26161681
	v_cmp_eq_u32_e64 s[16:17], 1, v11                          // 0000000068B0: D0CA0010 00021681
	s_andn2_b64 s[20:21], s[20:21], exec                       // 0000000068B8: 89947E14
	s_and_b64 s[16:17], s[16:17], exec                         // 0000000068BC: 86907E10
	s_or_b64 s[20:21], s[20:21], s[16:17]                      // 0000000068C0: 87941014
	s_or_b64 exec, exec, s[24:25]                              // 0000000068C4: 87FE187E
	s_waitcnt lgkmcnt(0)                                       // 0000000068C8: BF8CC07F
	v_cndmask_b32_e64 v6, v6, v9, s[20:21]                     // 0000000068CC: D1000006 00521306
	v_cndmask_b32_e64 v7, v7, v8, s[20:21]                     // 0000000068D4: D1000007 00521107
	ds_bpermute_b32 v8, v1, v7                                 // 0000000068DC: D87E0000 08000701
	ds_bpermute_b32 v9, v1, v6                                 // 0000000068E4: D87E0000 09000601
	s_and_saveexec_b64 s[16:17], s[18:19]                      // 0000000068EC: BE902012
	s_xor_b64 s[24:25], exec, s[16:17]                         // 0000000068F0: 8898107E
	s_cbranch_execz 17                                         // 0000000068F4: BF880011 <_ZN5aiter10DecodeTopKL19topk_per_row_decodeILi1024ELb0ELi4EEEvPKfPKiPiiii+0x4d3c>
	s_waitcnt lgkmcnt(1)                                       // 0000000068F8: BF8CC17F
	v_cmp_lt_f32_e64 s[16:17], v7, v8                          // 0000000068FC: D0410010 00021107
	s_nop 1                                                    // 000000006904: BF800001
	v_cndmask_b32_e64 v11, 0, 1, s[16:17]                      // 000000006908: D100000B 00410280
	v_cmp_gt_f32_e64 s[16:17], v7, v8                          // 000000006910: D0440010 00021107
	s_nop 1                                                    // 000000006918: BF800001
	v_cndmask_b32_e64 v14, 0, 1, s[16:17]                      // 00000000691C: D100000E 00410280
	v_cndmask_b32_e64 v11, v14, v11, s[4:5]                    // 000000006924: D100000B 0012170E
	v_and_b32_e32 v11, 1, v11                                  // 00000000692C: 26161681
	v_cmp_eq_u32_e64 s[16:17], 1, v11                          // 000000006930: D0CA0010 00021681
	s_and_b64 s[20:21], s[16:17], exec                         // 000000006938: 86947E10
	s_andn2_saveexec_b64 s[24:25], s[24:25]                    // 00000000693C: BE982318
	s_cbranch_execz 19                                         // 000000006940: BF880013 <_ZN5aiter10DecodeTopKL19topk_per_row_decodeILi1024ELb0ELi4EEEvPKfPKiPiiii+0x4d90>
	s_waitcnt lgkmcnt(1)                                       // 000000006944: BF8CC17F
	v_cmp_gt_f32_e64 s[16:17], v7, v8                          // 000000006948: D0440010 00021107
	s_nop 1                                                    // 000000006950: BF800001
	v_cndmask_b32_e64 v11, 0, 1, s[16:17]                      // 000000006954: D100000B 00410280
	v_cmp_lt_f32_e64 s[16:17], v7, v8                          // 00000000695C: D0410010 00021107
	s_nop 1                                                    // 000000006964: BF800001
	v_cndmask_b32_e64 v14, 0, 1, s[16:17]                      // 000000006968: D100000E 00410280
	v_cndmask_b32_e64 v11, v14, v11, s[4:5]                    // 000000006970: D100000B 0012170E
	v_and_b32_e32 v11, 1, v11                                  // 000000006978: 26161681
	v_cmp_eq_u32_e64 s[16:17], 1, v11                          // 00000000697C: D0CA0010 00021681
	s_andn2_b64 s[20:21], s[20:21], exec                       // 000000006984: 89947E14
	s_and_b64 s[16:17], s[16:17], exec                         // 000000006988: 86907E10
	s_or_b64 s[20:21], s[20:21], s[16:17]                      // 00000000698C: 87941014
	s_or_b64 exec, exec, s[24:25]                              // 000000006990: 87FE187E
	s_waitcnt lgkmcnt(0)                                       // 000000006994: BF8CC07F
	v_cndmask_b32_e64 v6, v6, v9, s[20:21]                     // 000000006998: D1000006 00521306
	v_cndmask_b32_e64 v8, v7, v8, s[20:21]                     // 0000000069A0: D1000008 00521107
	ds_bpermute_b32 v9, v0, v8                                 // 0000000069A8: D87E0000 09000800
	ds_bpermute_b32 v7, v0, v6                                 // 0000000069B0: D87E0000 07000600
	s_and_saveexec_b64 s[16:17], s[18:19]                      // 0000000069B8: BE902012
	s_xor_b64 s[18:19], exec, s[16:17]                         // 0000000069BC: 8892107E
	s_cbranch_execz 17                                         // 0000000069C0: BF880011 <_ZN5aiter10DecodeTopKL19topk_per_row_decodeILi1024ELb0ELi4EEEvPKfPKiPiiii+0x4e08>
	s_waitcnt lgkmcnt(1)                                       // 0000000069C4: BF8CC17F
	v_cmp_lt_f32_e64 s[16:17], v8, v9                          // 0000000069C8: D0410010 00021308
	s_nop 1                                                    // 0000000069D0: BF800001
	v_cndmask_b32_e64 v11, 0, 1, s[16:17]                      // 0000000069D4: D100000B 00410280
	v_cmp_gt_f32_e64 s[16:17], v8, v9                          // 0000000069DC: D0440010 00021308
	s_nop 1                                                    // 0000000069E4: BF800001
	v_cndmask_b32_e64 v14, 0, 1, s[16:17]                      // 0000000069E8: D100000E 00410280
	v_cndmask_b32_e64 v11, v14, v11, s[0:1]                    // 0000000069F0: D100000B 0002170E
	v_and_b32_e32 v11, 1, v11                                  // 0000000069F8: 26161681
	v_cmp_eq_u32_e64 s[16:17], 1, v11                          // 0000000069FC: D0CA0010 00021681
	s_and_b64 s[20:21], s[16:17], exec                         // 000000006A04: 86947E10
	s_andn2_saveexec_b64 s[18:19], s[18:19]                    // 000000006A08: BE922312
	s_cbranch_execz 19                                         // 000000006A0C: BF880013 <_ZN5aiter10DecodeTopKL19topk_per_row_decodeILi1024ELb0ELi4EEEvPKfPKiPiiii+0x4e5c>
	s_waitcnt lgkmcnt(1)                                       // 000000006A10: BF8CC17F
	v_cmp_gt_f32_e64 s[16:17], v8, v9                          // 000000006A14: D0440010 00021308
	s_nop 1                                                    // 000000006A1C: BF800001
	v_cndmask_b32_e64 v11, 0, 1, s[16:17]                      // 000000006A20: D100000B 00410280
	v_cmp_lt_f32_e64 s[16:17], v8, v9                          // 000000006A28: D0410010 00021308
	s_nop 1                                                    // 000000006A30: BF800001
	v_cndmask_b32_e64 v14, 0, 1, s[16:17]                      // 000000006A34: D100000E 00410280
	v_cndmask_b32_e64 v11, v14, v11, s[0:1]                    // 000000006A3C: D100000B 0002170E
	v_and_b32_e32 v11, 1, v11                                  // 000000006A44: 26161681
	v_cmp_eq_u32_e64 s[16:17], 1, v11                          // 000000006A48: D0CA0010 00021681
	s_andn2_b64 s[20:21], s[20:21], exec                       // 000000006A50: 89947E14
	s_and_b64 s[16:17], s[16:17], exec                         // 000000006A54: 86907E10
	s_or_b64 s[20:21], s[20:21], s[16:17]                      // 000000006A58: 87941014
	s_or_b64 exec, exec, s[18:19]                              // 000000006A5C: 87FE127E
	s_waitcnt lgkmcnt(0)                                       // 000000006A60: BF8CC07F
	v_cndmask_b32_e64 v7, v6, v7, s[20:21]                     // 000000006A64: D1000007 00520F06
	v_cndmask_b32_e64 v8, v8, v9, s[20:21]                     // 000000006A6C: D1000008 00521308
	v_and_b32_e32 v14, 32, v12                                 // 000000006A74: 261C18A0
	v_xor_b32_e32 v15, 16, v2                                  // 000000006A78: 2A1E0490
	v_or_b32_e32 v6, v3, v15                                   // 000000006A7C: 280C1F03
	v_lshlrev_b32_e32 v6, 2, v6                                // 000000006A80: 240C0C82
	ds_bpermute_b32 v9, v6, v8                                 // 000000006A84: D87E0000 09000806
	ds_bpermute_b32 v11, v6, v7                                // 000000006A8C: D87E0000 0B000706
	v_cmp_ne_u32_e64 s[16:17], 0, v14                          // 000000006A94: D0CD0010 00021C80
	s_xor_b64 s[14:15], s[14:15], s[16:17]                     // 000000006A9C: 888E100E
	s_xor_b64 s[18:19], s[14:15], -1                           // 000000006AA0: 8892C10E
	v_cmp_lt_u32_e64 s[16:17], v2, v15                         // 000000006AA4: D0C90010 00021F02
	s_and_saveexec_b64 s[14:15], s[18:19]                      // 000000006AAC: BE8E2012
	s_xor_b64 s[24:25], exec, s[14:15]                         // 000000006AB0: 88980E7E
	s_cbranch_execz 17                                         // 000000006AB4: BF880011 <_ZN5aiter10DecodeTopKL19topk_per_row_decodeILi1024ELb0ELi4EEEvPKfPKiPiiii+0x4efc>
	s_waitcnt lgkmcnt(1)                                       // 000000006AB8: BF8CC17F
	v_cmp_lt_f32_e64 s[14:15], v8, v9                          // 000000006ABC: D041000E 00021308
	s_nop 1                                                    // 000000006AC4: BF800001
	v_cndmask_b32_e64 v14, 0, 1, s[14:15]                      // 000000006AC8: D100000E 00390280
	v_cmp_gt_f32_e64 s[14:15], v8, v9                          // 000000006AD0: D044000E 00021308
	s_nop 1                                                    // 000000006AD8: BF800001
	v_cndmask_b32_e64 v15, 0, 1, s[14:15]                      // 000000006ADC: D100000F 00390280
	v_cndmask_b32_e64 v14, v15, v14, s[16:17]                  // 000000006AE4: D100000E 00421D0F
	v_and_b32_e32 v14, 1, v14                                  // 000000006AEC: 261C1C81
	v_cmp_eq_u32_e64 s[14:15], 1, v14                          // 000000006AF0: D0CA000E 00021C81
	s_and_b64 s[20:21], s[14:15], exec                         // 000000006AF8: 86947E0E
	s_andn2_saveexec_b64 s[24:25], s[24:25]                    // 000000006AFC: BE982318
	s_cbranch_execz 19                                         // 000000006B00: BF880013 <_ZN5aiter10DecodeTopKL19topk_per_row_decodeILi1024ELb0ELi4EEEvPKfPKiPiiii+0x4f50>
	s_waitcnt lgkmcnt(1)                                       // 000000006B04: BF8CC17F
	v_cmp_gt_f32_e64 s[14:15], v8, v9                          // 000000006B08: D044000E 00021308
	s_nop 1                                                    // 000000006B10: BF800001
	v_cndmask_b32_e64 v14, 0, 1, s[14:15]                      // 000000006B14: D100000E 00390280
	v_cmp_lt_f32_e64 s[14:15], v8, v9                          // 000000006B1C: D041000E 00021308
	s_nop 1                                                    // 000000006B24: BF800001
	v_cndmask_b32_e64 v15, 0, 1, s[14:15]                      // 000000006B28: D100000F 00390280
	v_cndmask_b32_e64 v14, v15, v14, s[16:17]                  // 000000006B30: D100000E 00421D0F
	v_and_b32_e32 v14, 1, v14                                  // 000000006B38: 261C1C81
	v_cmp_eq_u32_e64 s[14:15], 1, v14                          // 000000006B3C: D0CA000E 00021C81
	s_andn2_b64 s[20:21], s[20:21], exec                       // 000000006B44: 89947E14
	s_and_b64 s[14:15], s[14:15], exec                         // 000000006B48: 868E7E0E
	s_or_b64 s[20:21], s[20:21], s[14:15]                      // 000000006B4C: 87940E14
	s_or_b64 exec, exec, s[24:25]                              // 000000006B50: 87FE187E
	s_waitcnt lgkmcnt(0)                                       // 000000006B54: BF8CC07F
	v_cndmask_b32_e64 v7, v7, v11, s[20:21]                    // 000000006B58: D1000007 00521707
	v_cndmask_b32_e64 v8, v8, v9, s[20:21]                     // 000000006B60: D1000008 00521308
	ds_bpermute_b32 v9, v5, v8                                 // 000000006B68: D87E0000 09000805
	ds_bpermute_b32 v11, v5, v7                                // 000000006B70: D87E0000 0B000705
	s_and_saveexec_b64 s[14:15], s[18:19]                      // 000000006B78: BE8E2012
	s_xor_b64 s[24:25], exec, s[14:15]                         // 000000006B7C: 88980E7E
	s_cbranch_execz 17                                         // 000000006B80: BF880011 <_ZN5aiter10DecodeTopKL19topk_per_row_decodeILi1024ELb0ELi4EEEvPKfPKiPiiii+0x4fc8>
	s_waitcnt lgkmcnt(1)                                       // 000000006B84: BF8CC17F
	v_cmp_lt_f32_e64 s[14:15], v8, v9                          // 000000006B88: D041000E 00021308
	s_nop 1                                                    // 000000006B90: BF800001
	v_cndmask_b32_e64 v14, 0, 1, s[14:15]                      // 000000006B94: D100000E 00390280
	v_cmp_gt_f32_e64 s[14:15], v8, v9                          // 000000006B9C: D044000E 00021308
	s_nop 1                                                    // 000000006BA4: BF800001
	v_cndmask_b32_e64 v15, 0, 1, s[14:15]                      // 000000006BA8: D100000F 00390280
	v_cndmask_b32_e64 v14, v15, v14, s[10:11]                  // 000000006BB0: D100000E 002A1D0F
	v_and_b32_e32 v14, 1, v14                                  // 000000006BB8: 261C1C81
	v_cmp_eq_u32_e64 s[14:15], 1, v14                          // 000000006BBC: D0CA000E 00021C81
	s_and_b64 s[20:21], s[14:15], exec                         // 000000006BC4: 86947E0E
	s_andn2_saveexec_b64 s[24:25], s[24:25]                    // 000000006BC8: BE982318
	s_cbranch_execz 19                                         // 000000006BCC: BF880013 <_ZN5aiter10DecodeTopKL19topk_per_row_decodeILi1024ELb0ELi4EEEvPKfPKiPiiii+0x501c>
	s_waitcnt lgkmcnt(1)                                       // 000000006BD0: BF8CC17F
	v_cmp_gt_f32_e64 s[14:15], v8, v9                          // 000000006BD4: D044000E 00021308
	s_nop 1                                                    // 000000006BDC: BF800001
	v_cndmask_b32_e64 v14, 0, 1, s[14:15]                      // 000000006BE0: D100000E 00390280
	v_cmp_lt_f32_e64 s[14:15], v8, v9                          // 000000006BE8: D041000E 00021308
	s_nop 1                                                    // 000000006BF0: BF800001
	v_cndmask_b32_e64 v15, 0, 1, s[14:15]                      // 000000006BF4: D100000F 00390280
	v_cndmask_b32_e64 v14, v15, v14, s[10:11]                  // 000000006BFC: D100000E 002A1D0F
	v_and_b32_e32 v14, 1, v14                                  // 000000006C04: 261C1C81
	v_cmp_eq_u32_e64 s[14:15], 1, v14                          // 000000006C08: D0CA000E 00021C81
	s_andn2_b64 s[20:21], s[20:21], exec                       // 000000006C10: 89947E14
	s_and_b64 s[14:15], s[14:15], exec                         // 000000006C14: 868E7E0E
	s_or_b64 s[20:21], s[20:21], s[14:15]                      // 000000006C18: 87940E14
	s_or_b64 exec, exec, s[24:25]                              // 000000006C1C: 87FE187E
	s_waitcnt lgkmcnt(0)                                       // 000000006C20: BF8CC07F
	v_cndmask_b32_e64 v7, v7, v11, s[20:21]                    // 000000006C24: D1000007 00521707
	v_cndmask_b32_e64 v8, v8, v9, s[20:21]                     // 000000006C2C: D1000008 00521308
	ds_bpermute_b32 v9, v4, v8                                 // 000000006C34: D87E0000 09000804
	ds_bpermute_b32 v11, v4, v7                                // 000000006C3C: D87E0000 0B000704
	s_and_saveexec_b64 s[14:15], s[18:19]                      // 000000006C44: BE8E2012
	s_xor_b64 s[24:25], exec, s[14:15]                         // 000000006C48: 88980E7E
	s_cbranch_execz 17                                         // 000000006C4C: BF880011 <_ZN5aiter10DecodeTopKL19topk_per_row_decodeILi1024ELb0ELi4EEEvPKfPKiPiiii+0x5094>
	s_waitcnt lgkmcnt(1)                                       // 000000006C50: BF8CC17F
	v_cmp_lt_f32_e64 s[14:15], v8, v9                          // 000000006C54: D041000E 00021308
	s_nop 1                                                    // 000000006C5C: BF800001
	v_cndmask_b32_e64 v14, 0, 1, s[14:15]                      // 000000006C60: D100000E 00390280
	v_cmp_gt_f32_e64 s[14:15], v8, v9                          // 000000006C68: D044000E 00021308
	s_nop 1                                                    // 000000006C70: BF800001
	v_cndmask_b32_e64 v15, 0, 1, s[14:15]                      // 000000006C74: D100000F 00390280
	v_cndmask_b32_e64 v14, v15, v14, s[6:7]                    // 000000006C7C: D100000E 001A1D0F
	v_and_b32_e32 v14, 1, v14                                  // 000000006C84: 261C1C81
	v_cmp_eq_u32_e64 s[14:15], 1, v14                          // 000000006C88: D0CA000E 00021C81
	s_and_b64 s[20:21], s[14:15], exec                         // 000000006C90: 86947E0E
	s_andn2_saveexec_b64 s[24:25], s[24:25]                    // 000000006C94: BE982318
	s_cbranch_execz 19                                         // 000000006C98: BF880013 <_ZN5aiter10DecodeTopKL19topk_per_row_decodeILi1024ELb0ELi4EEEvPKfPKiPiiii+0x50e8>
	s_waitcnt lgkmcnt(1)                                       // 000000006C9C: BF8CC17F
	v_cmp_gt_f32_e64 s[14:15], v8, v9                          // 000000006CA0: D044000E 00021308
	s_nop 1                                                    // 000000006CA8: BF800001
	v_cndmask_b32_e64 v14, 0, 1, s[14:15]                      // 000000006CAC: D100000E 00390280
	v_cmp_lt_f32_e64 s[14:15], v8, v9                          // 000000006CB4: D041000E 00021308
	s_nop 1                                                    // 000000006CBC: BF800001
	v_cndmask_b32_e64 v15, 0, 1, s[14:15]                      // 000000006CC0: D100000F 00390280
	v_cndmask_b32_e64 v14, v15, v14, s[6:7]                    // 000000006CC8: D100000E 001A1D0F
	v_and_b32_e32 v14, 1, v14                                  // 000000006CD0: 261C1C81
	v_cmp_eq_u32_e64 s[14:15], 1, v14                          // 000000006CD4: D0CA000E 00021C81
	s_andn2_b64 s[20:21], s[20:21], exec                       // 000000006CDC: 89947E14
	s_and_b64 s[14:15], s[14:15], exec                         // 000000006CE0: 868E7E0E
	s_or_b64 s[20:21], s[20:21], s[14:15]                      // 000000006CE4: 87940E14
	s_or_b64 exec, exec, s[24:25]                              // 000000006CE8: 87FE187E
	s_waitcnt lgkmcnt(0)                                       // 000000006CEC: BF8CC07F
	v_cndmask_b32_e64 v7, v7, v11, s[20:21]                    // 000000006CF0: D1000007 00521707
	v_cndmask_b32_e64 v8, v8, v9, s[20:21]                     // 000000006CF8: D1000008 00521308
	ds_bpermute_b32 v9, v1, v8                                 // 000000006D00: D87E0000 09000801
	ds_bpermute_b32 v11, v1, v7                                // 000000006D08: D87E0000 0B000701
	s_and_saveexec_b64 s[14:15], s[18:19]                      // 000000006D10: BE8E2012
	s_xor_b64 s[24:25], exec, s[14:15]                         // 000000006D14: 88980E7E
	s_cbranch_execz 17                                         // 000000006D18: BF880011 <_ZN5aiter10DecodeTopKL19topk_per_row_decodeILi1024ELb0ELi4EEEvPKfPKiPiiii+0x5160>
	s_waitcnt lgkmcnt(1)                                       // 000000006D1C: BF8CC17F
	v_cmp_lt_f32_e64 s[14:15], v8, v9                          // 000000006D20: D041000E 00021308
	s_nop 1                                                    // 000000006D28: BF800001
	v_cndmask_b32_e64 v14, 0, 1, s[14:15]                      // 000000006D2C: D100000E 00390280
	v_cmp_gt_f32_e64 s[14:15], v8, v9                          // 000000006D34: D044000E 00021308
	s_nop 1                                                    // 000000006D3C: BF800001
	v_cndmask_b32_e64 v15, 0, 1, s[14:15]                      // 000000006D40: D100000F 00390280
	v_cndmask_b32_e64 v14, v15, v14, s[4:5]                    // 000000006D48: D100000E 00121D0F
	v_and_b32_e32 v14, 1, v14                                  // 000000006D50: 261C1C81
	v_cmp_eq_u32_e64 s[14:15], 1, v14                          // 000000006D54: D0CA000E 00021C81
	s_and_b64 s[20:21], s[14:15], exec                         // 000000006D5C: 86947E0E
	s_andn2_saveexec_b64 s[24:25], s[24:25]                    // 000000006D60: BE982318
	s_cbranch_execz 19                                         // 000000006D64: BF880013 <_ZN5aiter10DecodeTopKL19topk_per_row_decodeILi1024ELb0ELi4EEEvPKfPKiPiiii+0x51b4>
	s_waitcnt lgkmcnt(1)                                       // 000000006D68: BF8CC17F
	v_cmp_gt_f32_e64 s[14:15], v8, v9                          // 000000006D6C: D044000E 00021308
	s_nop 1                                                    // 000000006D74: BF800001
	v_cndmask_b32_e64 v14, 0, 1, s[14:15]                      // 000000006D78: D100000E 00390280
	v_cmp_lt_f32_e64 s[14:15], v8, v9                          // 000000006D80: D041000E 00021308
	s_nop 1                                                    // 000000006D88: BF800001
	v_cndmask_b32_e64 v15, 0, 1, s[14:15]                      // 000000006D8C: D100000F 00390280
	v_cndmask_b32_e64 v14, v15, v14, s[4:5]                    // 000000006D94: D100000E 00121D0F
	v_and_b32_e32 v14, 1, v14                                  // 000000006D9C: 261C1C81
	v_cmp_eq_u32_e64 s[14:15], 1, v14                          // 000000006DA0: D0CA000E 00021C81
	s_andn2_b64 s[20:21], s[20:21], exec                       // 000000006DA8: 89947E14
	s_and_b64 s[14:15], s[14:15], exec                         // 000000006DAC: 868E7E0E
	s_or_b64 s[20:21], s[20:21], s[14:15]                      // 000000006DB0: 87940E14
	s_or_b64 exec, exec, s[24:25]                              // 000000006DB4: 87FE187E
	s_waitcnt lgkmcnt(0)                                       // 000000006DB8: BF8CC07F
	v_cndmask_b32_e64 v7, v7, v11, s[20:21]                    // 000000006DBC: D1000007 00521707
	v_cndmask_b32_e64 v8, v8, v9, s[20:21]                     // 000000006DC4: D1000008 00521308
	ds_bpermute_b32 v9, v0, v8                                 // 000000006DCC: D87E0000 09000800
	ds_bpermute_b32 v11, v0, v7                                // 000000006DD4: D87E0000 0B000700
	s_and_saveexec_b64 s[14:15], s[18:19]                      // 000000006DDC: BE8E2012
	s_xor_b64 s[18:19], exec, s[14:15]                         // 000000006DE0: 88920E7E
	s_cbranch_execz 17                                         // 000000006DE4: BF880011 <_ZN5aiter10DecodeTopKL19topk_per_row_decodeILi1024ELb0ELi4EEEvPKfPKiPiiii+0x522c>
	s_waitcnt lgkmcnt(1)                                       // 000000006DE8: BF8CC17F
	v_cmp_lt_f32_e64 s[14:15], v8, v9                          // 000000006DEC: D041000E 00021308
	s_nop 1                                                    // 000000006DF4: BF800001
	v_cndmask_b32_e64 v14, 0, 1, s[14:15]                      // 000000006DF8: D100000E 00390280
	v_cmp_gt_f32_e64 s[14:15], v8, v9                          // 000000006E00: D044000E 00021308
	s_nop 1                                                    // 000000006E08: BF800001
	v_cndmask_b32_e64 v15, 0, 1, s[14:15]                      // 000000006E0C: D100000F 00390280
	v_cndmask_b32_e64 v14, v15, v14, s[0:1]                    // 000000006E14: D100000E 00021D0F
	v_and_b32_e32 v14, 1, v14                                  // 000000006E1C: 261C1C81
	v_cmp_eq_u32_e64 s[14:15], 1, v14                          // 000000006E20: D0CA000E 00021C81
	s_and_b64 s[20:21], s[14:15], exec                         // 000000006E28: 86947E0E
	s_andn2_saveexec_b64 s[18:19], s[18:19]                    // 000000006E2C: BE922312
	s_cbranch_execz 19                                         // 000000006E30: BF880013 <_ZN5aiter10DecodeTopKL19topk_per_row_decodeILi1024ELb0ELi4EEEvPKfPKiPiiii+0x5280>
	s_waitcnt lgkmcnt(1)                                       // 000000006E34: BF8CC17F
	v_cmp_gt_f32_e64 s[14:15], v8, v9                          // 000000006E38: D044000E 00021308
	s_nop 1                                                    // 000000006E40: BF800001
	v_cndmask_b32_e64 v14, 0, 1, s[14:15]                      // 000000006E44: D100000E 00390280
	v_cmp_lt_f32_e64 s[14:15], v8, v9                          // 000000006E4C: D041000E 00021308
	s_nop 1                                                    // 000000006E54: BF800001
	v_cndmask_b32_e64 v15, 0, 1, s[14:15]                      // 000000006E58: D100000F 00390280
	v_cndmask_b32_e64 v14, v15, v14, s[0:1]                    // 000000006E60: D100000E 00021D0F
	v_and_b32_e32 v14, 1, v14                                  // 000000006E68: 261C1C81
	v_cmp_eq_u32_e64 s[14:15], 1, v14                          // 000000006E6C: D0CA000E 00021C81
	s_andn2_b64 s[20:21], s[20:21], exec                       // 000000006E74: 89947E14
	s_and_b64 s[14:15], s[14:15], exec                         // 000000006E78: 868E7E0E
	s_or_b64 s[20:21], s[20:21], s[14:15]                      // 000000006E7C: 87940E14
	s_or_b64 exec, exec, s[18:19]                              // 000000006E80: 87FE127E
	s_waitcnt lgkmcnt(0)                                       // 000000006E84: BF8CC07F
	v_cndmask_b32_e64 v7, v7, v11, s[20:21]                    // 000000006E88: D1000007 00521707
	v_cndmask_b32_e64 v8, v8, v9, s[20:21]                     // 000000006E90: D1000008 00521308
	v_xor_b32_e32 v11, 32, v2                                  // 000000006E98: 2A1604A0
	v_or_b32_e32 v3, v3, v11                                   // 000000006E9C: 28061703
	v_lshlrev_b32_e32 v9, 2, v3                                // 000000006EA0: 24120682
	ds_bpermute_b32 v3, v9, v8                                 // 000000006EA4: D87E0000 03000809
	ds_bpermute_b32 v9, v9, v7                                 // 000000006EAC: D87E0000 09000709
	v_cmp_lt_u32_e64 s[14:15], v2, v11                         // 000000006EB4: D0C9000E 00021702
	s_and_saveexec_b64 s[18:19], s[2:3]                        // 000000006EBC: BE922002
	s_xor_b64 s[24:25], exec, s[18:19]                         // 000000006EC0: 8898127E
	s_cbranch_execz 17                                         // 000000006EC4: BF880011 <_ZN5aiter10DecodeTopKL19topk_per_row_decodeILi1024ELb0ELi4EEEvPKfPKiPiiii+0x530c>
	s_waitcnt lgkmcnt(1)                                       // 000000006EC8: BF8CC17F
	v_cmp_lt_f32_e64 s[18:19], v8, v3                          // 000000006ECC: D0410012 00020708
	s_nop 1                                                    // 000000006ED4: BF800001
	v_cndmask_b32_e64 v2, 0, 1, s[18:19]                       // 000000006ED8: D1000002 00490280
	v_cmp_gt_f32_e64 s[18:19], v8, v3                          // 000000006EE0: D0440012 00020708
	s_nop 1                                                    // 000000006EE8: BF800001
	v_cndmask_b32_e64 v11, 0, 1, s[18:19]                      // 000000006EEC: D100000B 00490280
	v_cndmask_b32_e64 v2, v11, v2, s[14:15]                    // 000000006EF4: D1000002 003A050B
	v_and_b32_e32 v2, 1, v2                                    // 000000006EFC: 26040481
	v_cmp_eq_u32_e64 s[18:19], 1, v2                           // 000000006F00: D0CA0012 00020481
	s_and_b64 s[20:21], s[18:19], exec                         // 000000006F08: 86947E12
	s_andn2_saveexec_b64 s[24:25], s[24:25]                    // 000000006F0C: BE982318
	s_cbranch_execz 19                                         // 000000006F10: BF880013 <_ZN5aiter10DecodeTopKL19topk_per_row_decodeILi1024ELb0ELi4EEEvPKfPKiPiiii+0x5360>
	s_waitcnt lgkmcnt(1)                                       // 000000006F14: BF8CC17F
	v_cmp_gt_f32_e64 s[18:19], v8, v3                          // 000000006F18: D0440012 00020708
	s_nop 1                                                    // 000000006F20: BF800001
	v_cndmask_b32_e64 v2, 0, 1, s[18:19]                       // 000000006F24: D1000002 00490280
	v_cmp_lt_f32_e64 s[18:19], v8, v3                          // 000000006F2C: D0410012 00020708
	s_nop 1                                                    // 000000006F34: BF800001
	v_cndmask_b32_e64 v11, 0, 1, s[18:19]                      // 000000006F38: D100000B 00490280
	v_cndmask_b32_e64 v2, v11, v2, s[14:15]                    // 000000006F40: D1000002 003A050B
	v_and_b32_e32 v2, 1, v2                                    // 000000006F48: 26040481
	v_cmp_eq_u32_e64 s[14:15], 1, v2                           // 000000006F4C: D0CA000E 00020481
	s_andn2_b64 s[18:19], s[20:21], exec                       // 000000006F54: 89927E14
	s_and_b64 s[14:15], s[14:15], exec                         // 000000006F58: 868E7E0E
	s_or_b64 s[20:21], s[18:19], s[14:15]                      // 000000006F5C: 87940E12
	s_or_b64 exec, exec, s[24:25]                              // 000000006F60: 87FE187E
	s_waitcnt lgkmcnt(0)                                       // 000000006F64: BF8CC07F
	v_cndmask_b32_e64 v2, v7, v9, s[20:21]                     // 000000006F68: D1000002 00521307
	v_cndmask_b32_e64 v3, v8, v3, s[20:21]                     // 000000006F70: D1000003 00520708
	ds_bpermute_b32 v7, v6, v3                                 // 000000006F78: D87E0000 07000306
	ds_bpermute_b32 v6, v6, v2                                 // 000000006F80: D87E0000 06000206
	s_and_saveexec_b64 s[14:15], s[2:3]                        // 000000006F88: BE8E2002
	s_xor_b64 s[20:21], exec, s[14:15]                         // 000000006F8C: 88940E7E
	s_cbranch_execz 17                                         // 000000006F90: BF880011 <_ZN5aiter10DecodeTopKL19topk_per_row_decodeILi1024ELb0ELi4EEEvPKfPKiPiiii+0x53d8>
	s_waitcnt lgkmcnt(1)                                       // 000000006F94: BF8CC17F
	v_cmp_lt_f32_e64 s[14:15], v3, v7                          // 000000006F98: D041000E 00020F03
	s_nop 1                                                    // 000000006FA0: BF800001
	v_cndmask_b32_e64 v8, 0, 1, s[14:15]                       // 000000006FA4: D1000008 00390280
	v_cmp_gt_f32_e64 s[14:15], v3, v7                          // 000000006FAC: D044000E 00020F03
	s_nop 1                                                    // 000000006FB4: BF800001
	v_cndmask_b32_e64 v9, 0, 1, s[14:15]                       // 000000006FB8: D1000009 00390280
	v_cndmask_b32_e64 v8, v9, v8, s[16:17]                     // 000000006FC0: D1000008 00421109
	v_and_b32_e32 v8, 1, v8                                    // 000000006FC8: 26101081
	v_cmp_eq_u32_e64 s[14:15], 1, v8                           // 000000006FCC: D0CA000E 00021081
	s_and_b64 s[18:19], s[14:15], exec                         // 000000006FD4: 86927E0E
	s_andn2_saveexec_b64 s[20:21], s[20:21]                    // 000000006FD8: BE942314
	s_cbranch_execz 19                                         // 000000006FDC: BF880013 <_ZN5aiter10DecodeTopKL19topk_per_row_decodeILi1024ELb0ELi4EEEvPKfPKiPiiii+0x542c>
	s_waitcnt lgkmcnt(1)                                       // 000000006FE0: BF8CC17F
	v_cmp_gt_f32_e64 s[14:15], v3, v7                          // 000000006FE4: D044000E 00020F03
	s_nop 1                                                    // 000000006FEC: BF800001
	v_cndmask_b32_e64 v8, 0, 1, s[14:15]                       // 000000006FF0: D1000008 00390280
	v_cmp_lt_f32_e64 s[14:15], v3, v7                          // 000000006FF8: D041000E 00020F03
	s_nop 1                                                    // 000000007000: BF800001
	v_cndmask_b32_e64 v9, 0, 1, s[14:15]                       // 000000007004: D1000009 00390280
	v_cndmask_b32_e64 v8, v9, v8, s[16:17]                     // 00000000700C: D1000008 00421109
	v_and_b32_e32 v8, 1, v8                                    // 000000007014: 26101081
	v_cmp_eq_u32_e64 s[14:15], 1, v8                           // 000000007018: D0CA000E 00021081
	s_andn2_b64 s[16:17], s[18:19], exec                       // 000000007020: 89907E12
	s_and_b64 s[14:15], s[14:15], exec                         // 000000007024: 868E7E0E
	s_or_b64 s[18:19], s[16:17], s[14:15]                      // 000000007028: 87920E10
	s_or_b64 exec, exec, s[20:21]                              // 00000000702C: 87FE147E
	s_waitcnt lgkmcnt(0)                                       // 000000007030: BF8CC07F
	v_cndmask_b32_e64 v2, v2, v6, s[18:19]                     // 000000007034: D1000002 004A0D02
	v_cndmask_b32_e64 v3, v3, v7, s[18:19]                     // 00000000703C: D1000003 004A0F03
	ds_bpermute_b32 v6, v5, v3                                 // 000000007044: D87E0000 06000305
	ds_bpermute_b32 v5, v5, v2                                 // 00000000704C: D87E0000 05000205
	s_and_saveexec_b64 s[14:15], s[2:3]                        // 000000007054: BE8E2002
	s_xor_b64 s[18:19], exec, s[14:15]                         // 000000007058: 88920E7E
	s_cbranch_execz 17                                         // 00000000705C: BF880011 <_ZN5aiter10DecodeTopKL19topk_per_row_decodeILi1024ELb0ELi4EEEvPKfPKiPiiii+0x54a4>
	s_waitcnt lgkmcnt(1)                                       // 000000007060: BF8CC17F
	v_cmp_lt_f32_e64 s[14:15], v3, v6                          // 000000007064: D041000E 00020D03
	s_nop 1                                                    // 00000000706C: BF800001
	v_cndmask_b32_e64 v7, 0, 1, s[14:15]                       // 000000007070: D1000007 00390280
	v_cmp_gt_f32_e64 s[14:15], v3, v6                          // 000000007078: D044000E 00020D03
	s_nop 1                                                    // 000000007080: BF800001
	v_cndmask_b32_e64 v8, 0, 1, s[14:15]                       // 000000007084: D1000008 00390280
	v_cndmask_b32_e64 v7, v8, v7, s[10:11]                     // 00000000708C: D1000007 002A0F08
	v_and_b32_e32 v7, 1, v7                                    // 000000007094: 260E0E81
	v_cmp_eq_u32_e64 s[14:15], 1, v7                           // 000000007098: D0CA000E 00020E81
	s_and_b64 s[16:17], s[14:15], exec                         // 0000000070A0: 86907E0E
	s_andn2_saveexec_b64 s[18:19], s[18:19]                    // 0000000070A4: BE922312
	s_cbranch_execz 19                                         // 0000000070A8: BF880013 <_ZN5aiter10DecodeTopKL19topk_per_row_decodeILi1024ELb0ELi4EEEvPKfPKiPiiii+0x54f8>
	s_waitcnt lgkmcnt(1)                                       // 0000000070AC: BF8CC17F
	v_cmp_gt_f32_e64 s[14:15], v3, v6                          // 0000000070B0: D044000E 00020D03
	s_nop 1                                                    // 0000000070B8: BF800001
	v_cndmask_b32_e64 v7, 0, 1, s[14:15]                       // 0000000070BC: D1000007 00390280
	v_cmp_lt_f32_e64 s[14:15], v3, v6                          // 0000000070C4: D041000E 00020D03
	s_nop 1                                                    // 0000000070CC: BF800001
	v_cndmask_b32_e64 v8, 0, 1, s[14:15]                       // 0000000070D0: D1000008 00390280
	v_cndmask_b32_e64 v7, v8, v7, s[10:11]                     // 0000000070D8: D1000007 002A0F08
	v_and_b32_e32 v7, 1, v7                                    // 0000000070E0: 260E0E81
	v_cmp_eq_u32_e64 s[10:11], 1, v7                           // 0000000070E4: D0CA000A 00020E81
	s_andn2_b64 s[14:15], s[16:17], exec                       // 0000000070EC: 898E7E10
	s_and_b64 s[10:11], s[10:11], exec                         // 0000000070F0: 868A7E0A
	s_or_b64 s[16:17], s[14:15], s[10:11]                      // 0000000070F4: 87900A0E
	s_or_b64 exec, exec, s[18:19]                              // 0000000070F8: 87FE127E
	s_waitcnt lgkmcnt(0)                                       // 0000000070FC: BF8CC07F
	v_cndmask_b32_e64 v2, v2, v5, s[16:17]                     // 000000007100: D1000002 00420B02
	v_cndmask_b32_e64 v3, v3, v6, s[16:17]                     // 000000007108: D1000003 00420D03
	ds_bpermute_b32 v5, v4, v3                                 // 000000007110: D87E0000 05000304
	ds_bpermute_b32 v4, v4, v2                                 // 000000007118: D87E0000 04000204
	s_and_saveexec_b64 s[10:11], s[2:3]                        // 000000007120: BE8A2002
	s_xor_b64 s[16:17], exec, s[10:11]                         // 000000007124: 88900A7E
	s_cbranch_execz 17                                         // 000000007128: BF880011 <_ZN5aiter10DecodeTopKL19topk_per_row_decodeILi1024ELb0ELi4EEEvPKfPKiPiiii+0x5570>
	s_waitcnt lgkmcnt(1)                                       // 00000000712C: BF8CC17F
	v_cmp_lt_f32_e64 s[10:11], v3, v5                          // 000000007130: D041000A 00020B03
	s_nop 1                                                    // 000000007138: BF800001
	v_cndmask_b32_e64 v6, 0, 1, s[10:11]                       // 00000000713C: D1000006 00290280
	v_cmp_gt_f32_e64 s[10:11], v3, v5                          // 000000007144: D044000A 00020B03
	s_nop 1                                                    // 00000000714C: BF800001
	v_cndmask_b32_e64 v7, 0, 1, s[10:11]                       // 000000007150: D1000007 00290280
	v_cndmask_b32_e64 v6, v7, v6, s[6:7]                       // 000000007158: D1000006 001A0D07
	v_and_b32_e32 v6, 1, v6                                    // 000000007160: 260C0C81
	v_cmp_eq_u32_e64 s[10:11], 1, v6                           // 000000007164: D0CA000A 00020C81
	s_and_b64 s[14:15], s[10:11], exec                         // 00000000716C: 868E7E0A
	s_andn2_saveexec_b64 s[16:17], s[16:17]                    // 000000007170: BE902310
	s_cbranch_execz 19                                         // 000000007174: BF880013 <_ZN5aiter10DecodeTopKL19topk_per_row_decodeILi1024ELb0ELi4EEEvPKfPKiPiiii+0x55c4>
	s_waitcnt lgkmcnt(1)                                       // 000000007178: BF8CC17F
	v_cmp_gt_f32_e64 s[10:11], v3, v5                          // 00000000717C: D044000A 00020B03
	s_nop 1                                                    // 000000007184: BF800001
	v_cndmask_b32_e64 v6, 0, 1, s[10:11]                       // 000000007188: D1000006 00290280
	v_cmp_lt_f32_e64 s[10:11], v3, v5                          // 000000007190: D041000A 00020B03
	s_nop 1                                                    // 000000007198: BF800001
	v_cndmask_b32_e64 v7, 0, 1, s[10:11]                       // 00000000719C: D1000007 00290280
	v_cndmask_b32_e64 v6, v7, v6, s[6:7]                       // 0000000071A4: D1000006 001A0D07
	v_and_b32_e32 v6, 1, v6                                    // 0000000071AC: 260C0C81
	v_cmp_eq_u32_e64 s[6:7], 1, v6                             // 0000000071B0: D0CA0006 00020C81
	s_andn2_b64 s[10:11], s[14:15], exec                       // 0000000071B8: 898A7E0E
	s_and_b64 s[6:7], s[6:7], exec                             // 0000000071BC: 86867E06
	s_or_b64 s[14:15], s[10:11], s[6:7]                        // 0000000071C0: 878E060A
	s_or_b64 exec, exec, s[16:17]                              // 0000000071C4: 87FE107E
	s_waitcnt lgkmcnt(0)                                       // 0000000071C8: BF8CC07F
	v_cndmask_b32_e64 v2, v2, v4, s[14:15]                     // 0000000071CC: D1000002 003A0902
	v_cndmask_b32_e64 v3, v3, v5, s[14:15]                     // 0000000071D4: D1000003 003A0B03
	ds_bpermute_b32 v4, v1, v3                                 // 0000000071DC: D87E0000 04000301
	ds_bpermute_b32 v1, v1, v2                                 // 0000000071E4: D87E0000 01000201
	s_and_saveexec_b64 s[6:7], s[2:3]                          // 0000000071EC: BE862002
	s_xor_b64 s[14:15], exec, s[6:7]                           // 0000000071F0: 888E067E
	s_cbranch_execz 17                                         // 0000000071F4: BF880011 <_ZN5aiter10DecodeTopKL19topk_per_row_decodeILi1024ELb0ELi4EEEvPKfPKiPiiii+0x563c>
	s_waitcnt lgkmcnt(1)                                       // 0000000071F8: BF8CC17F
	v_cmp_lt_f32_e64 s[6:7], v3, v4                            // 0000000071FC: D0410006 00020903
	s_nop 1                                                    // 000000007204: BF800001
	v_cndmask_b32_e64 v5, 0, 1, s[6:7]                         // 000000007208: D1000005 00190280
	v_cmp_gt_f32_e64 s[6:7], v3, v4                            // 000000007210: D0440006 00020903
	s_nop 1                                                    // 000000007218: BF800001
	v_cndmask_b32_e64 v6, 0, 1, s[6:7]                         // 00000000721C: D1000006 00190280
	v_cndmask_b32_e64 v5, v6, v5, s[4:5]                       // 000000007224: D1000005 00120B06
	v_and_b32_e32 v5, 1, v5                                    // 00000000722C: 260A0A81
	v_cmp_eq_u32_e64 s[6:7], 1, v5                             // 000000007230: D0CA0006 00020A81
	s_and_b64 s[10:11], s[6:7], exec                           // 000000007238: 868A7E06
	s_andn2_saveexec_b64 s[14:15], s[14:15]                    // 00000000723C: BE8E230E
	s_cbranch_execz 19                                         // 000000007240: BF880013 <_ZN5aiter10DecodeTopKL19topk_per_row_decodeILi1024ELb0ELi4EEEvPKfPKiPiiii+0x5690>
	s_waitcnt lgkmcnt(1)                                       // 000000007244: BF8CC17F
	v_cmp_gt_f32_e64 s[6:7], v3, v4                            // 000000007248: D0440006 00020903
	s_nop 1                                                    // 000000007250: BF800001
	v_cndmask_b32_e64 v5, 0, 1, s[6:7]                         // 000000007254: D1000005 00190280
	v_cmp_lt_f32_e64 s[6:7], v3, v4                            // 00000000725C: D0410006 00020903
	s_nop 1                                                    // 000000007264: BF800001
	v_cndmask_b32_e64 v6, 0, 1, s[6:7]                         // 000000007268: D1000006 00190280
	v_cndmask_b32_e64 v5, v6, v5, s[4:5]                       // 000000007270: D1000005 00120B06
	v_and_b32_e32 v5, 1, v5                                    // 000000007278: 260A0A81
	v_cmp_eq_u32_e64 s[4:5], 1, v5                             // 00000000727C: D0CA0004 00020A81
	s_andn2_b64 s[6:7], s[10:11], exec                         // 000000007284: 89867E0A
	s_and_b64 s[4:5], s[4:5], exec                             // 000000007288: 86847E04
	s_or_b64 s[10:11], s[6:7], s[4:5]                          // 00000000728C: 878A0406
	s_or_b64 exec, exec, s[14:15]                              // 000000007290: 87FE0E7E
	s_waitcnt lgkmcnt(0)                                       // 000000007294: BF8CC07F
	v_cndmask_b32_e64 v1, v2, v1, s[10:11]                     // 000000007298: D1000001 002A0302
	v_cndmask_b32_e64 v2, v3, v4, s[10:11]                     // 0000000072A0: D1000002 002A0903
	ds_bpermute_b32 v3, v0, v2                                 // 0000000072A8: D87E0000 03000200
	ds_bpermute_b32 v0, v0, v1                                 // 0000000072B0: D87E0000 00000100
	s_and_saveexec_b64 s[6:7], s[2:3]                          // 0000000072B8: BE862002
	s_xor_b64 s[6:7], exec, s[6:7]                             // 0000000072BC: 8886067E
	s_cbranch_execz 17                                         // 0000000072C0: BF880011 <_ZN5aiter10DecodeTopKL19topk_per_row_decodeILi1024ELb0ELi4EEEvPKfPKiPiiii+0x5708>
	s_waitcnt lgkmcnt(1)                                       // 0000000072C4: BF8CC17F
	v_cmp_lt_f32_e64 s[2:3], v2, v3                            // 0000000072C8: D0410002 00020702
	s_nop 1                                                    // 0000000072D0: BF800001
	v_cndmask_b32_e64 v4, 0, 1, s[2:3]                         // 0000000072D4: D1000004 00090280
	v_cmp_gt_f32_e64 s[2:3], v2, v3                            // 0000000072DC: D0440002 00020702
	s_nop 1                                                    // 0000000072E4: BF800001
	v_cndmask_b32_e64 v5, 0, 1, s[2:3]                         // 0000000072E8: D1000005 00090280
	v_cndmask_b32_e64 v4, v5, v4, s[0:1]                       // 0000000072F0: D1000004 00020905
	v_and_b32_e32 v4, 1, v4                                    // 0000000072F8: 26080881
	v_cmp_eq_u32_e64 s[2:3], 1, v4                             // 0000000072FC: D0CA0002 00020881
	s_and_b64 s[4:5], s[2:3], exec                             // 000000007304: 86847E02
	s_andn2_saveexec_b64 s[6:7], s[6:7]                        // 000000007308: BE862306
	s_cbranch_execz 19                                         // 00000000730C: BF880013 <_ZN5aiter10DecodeTopKL19topk_per_row_decodeILi1024ELb0ELi4EEEvPKfPKiPiiii+0x575c>
	s_waitcnt lgkmcnt(1)                                       // 000000007310: BF8CC17F
	v_cmp_gt_f32_e64 s[2:3], v2, v3                            // 000000007314: D0440002 00020702
	s_nop 1                                                    // 00000000731C: BF800001
	v_cndmask_b32_e64 v4, 0, 1, s[2:3]                         // 000000007320: D1000004 00090280
	v_cmp_lt_f32_e64 s[2:3], v2, v3                            // 000000007328: D0410002 00020702
	s_nop 1                                                    // 000000007330: BF800001
	v_cndmask_b32_e64 v5, 0, 1, s[2:3]                         // 000000007334: D1000005 00090280
	v_cndmask_b32_e64 v4, v5, v4, s[0:1]                       // 00000000733C: D1000004 00020905
	v_and_b32_e32 v4, 1, v4                                    // 000000007344: 26080881
	v_cmp_eq_u32_e64 s[0:1], 1, v4                             // 000000007348: D0CA0000 00020881
	s_andn2_b64 s[2:3], s[4:5], exec                           // 000000007350: 89827E04
	s_and_b64 s[0:1], s[0:1], exec                             // 000000007354: 86807E00
	s_or_b64 s[4:5], s[2:3], s[0:1]                            // 000000007358: 87840002
	s_or_b64 exec, exec, s[6:7]                                // 00000000735C: 87FE067E
	s_waitcnt lgkmcnt(1)                                       // 000000007360: BF8CC17F
	v_cndmask_b32_e64 v2, v2, v3, s[4:5]                       // 000000007364: D1000002 00120702
	s_waitcnt lgkmcnt(0)                                       // 00000000736C: BF8CC07F
	v_cndmask_b32_e64 v0, v1, v0, s[4:5]                       // 000000007370: D1000000 00120101
	ds_write_b32 v13, v2 offset:8208                           // 000000007378: D81A2010 0000020D
	ds_write_b32 v13, v0                                       // 000000007380: D81A0000 0000000D
	s_waitcnt lgkmcnt(0)                                       // 000000007388: BF8CC07F
	s_barrier                                                  // 00000000738C: BF8A0000
	s_movk_i32 s0, 0x80                                        // 000000007390: B0000080
	v_cmp_gt_u32_e64 s[14:15], s0, v12                         // 000000007394: D0CC000E 00021800
	v_xor_b32_e32 v0, 64, v12                                  // 00000000739C: 2A0018C0
	v_cmp_gt_u32_e64 s[0:1], v0, v12                           // 0000000073A0: D0CC0000 00021900
	v_lshlrev_b32_e32 v0, 2, v0                                // 0000000073A8: 24000082
	s_and_saveexec_b64 s[4:5], s[0:1]                          // 0000000073AC: BE842000
	s_cbranch_execz 36                                         // 0000000073B0: BF880024 <_ZN5aiter10DecodeTopKL19topk_per_row_decodeILi1024ELb0ELi4EEEvPKfPKiPiiii+0x5844>
	ds_read_b32 v1, v13 offset:8208                            // 0000000073B4: D86C2010 0100000D
	ds_read_b32 v2, v0 offset:8208                             // 0000000073BC: D86C2010 02000000
	s_waitcnt lgkmcnt(0)                                       // 0000000073C4: BF8CC07F
	v_cmp_lt_f32_e64 s[2:3], v1, v2                            // 0000000073C8: D0410002 00020501
	s_nop 1                                                    // 0000000073D0: BF800001
	v_cndmask_b32_e64 v3, 0, 1, s[2:3]                         // 0000000073D4: D1000003 00090280
	v_cmp_gt_f32_e64 s[2:3], v1, v2                            // 0000000073DC: D0440002 00020501
	s_nop 1                                                    // 0000000073E4: BF800001
	v_cndmask_b32_e64 v4, 0, 1, s[2:3]                         // 0000000073E8: D1000004 00090280
	v_cndmask_b32_e64 v3, v4, v3, s[14:15]                     // 0000000073F0: D1000003 003A0704
	v_and_b32_e32 v3, 1, v3                                    // 0000000073F8: 26060681
	v_cmp_eq_u32_e64 s[2:3], 1, v3                             // 0000000073FC: D0CA0002 00020681
	s_and_b64 exec, exec, s[2:3]                               // 000000007404: 86FE027E
	s_cbranch_execz 14                                         // 000000007408: BF88000E <_ZN5aiter10DecodeTopKL19topk_per_row_decodeILi1024ELb0ELi4EEEvPKfPKiPiiii+0x5844>
	ds_read_b32 v3, v0                                         // 00000000740C: D86C0000 03000000
	ds_read_b32 v4, v13                                        // 000000007414: D86C0000 0400000D
	ds_write_b32 v13, v2 offset:8208                           // 00000000741C: D81A2010 0000020D
	ds_write_b32 v0, v1 offset:8208                            // 000000007424: D81A2010 00000100
	s_waitcnt lgkmcnt(3)                                       // 00000000742C: BF8CC37F
	ds_write_b32 v13, v3                                       // 000000007430: D81A0000 0000030D
	s_waitcnt lgkmcnt(3)                                       // 000000007438: BF8CC37F
	ds_write_b32 v0, v4                                        // 00000000743C: D81A0000 00000400
	s_or_b64 exec, exec, s[4:5]                                // 000000007444: 87FE047E
	s_waitcnt lgkmcnt(0)                                       // 000000007448: BF8CC07F
	s_barrier                                                  // 00000000744C: BF8A0000
	v_xor_b32_e32 v1, 32, v12                                  // 000000007450: 2A0218A0
	v_cmp_gt_u32_e64 s[2:3], v1, v12                           // 000000007454: D0CC0002 00021901
	v_lshlrev_b32_e32 v1, 2, v1                                // 00000000745C: 24020282
	s_and_saveexec_b64 s[6:7], s[2:3]                          // 000000007460: BE862002
	s_cbranch_execz 36                                         // 000000007464: BF880024 <_ZN5aiter10DecodeTopKL19topk_per_row_decodeILi1024ELb0ELi4EEEvPKfPKiPiiii+0x58f8>
	ds_read_b32 v2, v13 offset:8208                            // 000000007468: D86C2010 0200000D
	ds_read_b32 v3, v1 offset:8208                             // 000000007470: D86C2010 03000001
	s_waitcnt lgkmcnt(0)                                       // 000000007478: BF8CC07F
	v_cmp_lt_f32_e64 s[4:5], v2, v3                            // 00000000747C: D0410004 00020702
	s_nop 1                                                    // 000000007484: BF800001
	v_cndmask_b32_e64 v4, 0, 1, s[4:5]                         // 000000007488: D1000004 00110280
	v_cmp_gt_f32_e64 s[4:5], v2, v3                            // 000000007490: D0440004 00020702
	s_nop 1                                                    // 000000007498: BF800001
	v_cndmask_b32_e64 v5, 0, 1, s[4:5]                         // 00000000749C: D1000005 00110280
	v_cndmask_b32_e64 v4, v5, v4, s[14:15]                     // 0000000074A4: D1000004 003A0905
	v_and_b32_e32 v4, 1, v4                                    // 0000000074AC: 26080881
	v_cmp_eq_u32_e64 s[4:5], 1, v4                             // 0000000074B0: D0CA0004 00020881
	s_and_b64 exec, exec, s[4:5]                               // 0000000074B8: 86FE047E
	s_cbranch_execz 14                                         // 0000000074BC: BF88000E <_ZN5aiter10DecodeTopKL19topk_per_row_decodeILi1024ELb0ELi4EEEvPKfPKiPiiii+0x58f8>
	ds_read_b32 v4, v1                                         // 0000000074C0: D86C0000 04000001
	ds_read_b32 v5, v13                                        // 0000000074C8: D86C0000 0500000D
	ds_write_b32 v13, v3 offset:8208                           // 0000000074D0: D81A2010 0000030D
	ds_write_b32 v1, v2 offset:8208                            // 0000000074D8: D81A2010 00000201
	s_waitcnt lgkmcnt(3)                                       // 0000000074E0: BF8CC37F
	ds_write_b32 v13, v4                                       // 0000000074E4: D81A0000 0000040D
	s_waitcnt lgkmcnt(3)                                       // 0000000074EC: BF8CC37F
	ds_write_b32 v1, v5                                        // 0000000074F0: D81A0000 00000501
	s_or_b64 exec, exec, s[6:7]                                // 0000000074F8: 87FE067E
	s_waitcnt lgkmcnt(0)                                       // 0000000074FC: BF8CC07F
	s_barrier                                                  // 000000007500: BF8A0000
	v_xor_b32_e32 v2, 16, v12                                  // 000000007504: 2A041890
	v_cmp_gt_u32_e64 s[4:5], v2, v12                           // 000000007508: D0CC0004 00021902
	v_lshlrev_b32_e32 v2, 2, v2                                // 000000007510: 24040482
	s_and_saveexec_b64 s[10:11], s[4:5]                        // 000000007514: BE8A2004
	s_cbranch_execz 36                                         // 000000007518: BF880024 <_ZN5aiter10DecodeTopKL19topk_per_row_decodeILi1024ELb0ELi4EEEvPKfPKiPiiii+0x59ac>
	ds_read_b32 v3, v13 offset:8208                            // 00000000751C: D86C2010 0300000D
	ds_read_b32 v4, v2 offset:8208                             // 000000007524: D86C2010 04000002
	s_waitcnt lgkmcnt(0)                                       // 00000000752C: BF8CC07F
	v_cmp_lt_f32_e64 s[6:7], v3, v4                            // 000000007530: D0410006 00020903
	s_nop 1                                                    // 000000007538: BF800001
	v_cndmask_b32_e64 v5, 0, 1, s[6:7]                         // 00000000753C: D1000005 00190280
	v_cmp_gt_f32_e64 s[6:7], v3, v4                            // 000000007544: D0440006 00020903
	s_nop 1                                                    // 00000000754C: BF800001
	v_cndmask_b32_e64 v6, 0, 1, s[6:7]                         // 000000007550: D1000006 00190280
	v_cndmask_b32_e64 v5, v6, v5, s[14:15]                     // 000000007558: D1000005 003A0B06
	v_and_b32_e32 v5, 1, v5                                    // 000000007560: 260A0A81
	v_cmp_eq_u32_e64 s[6:7], 1, v5                             // 000000007564: D0CA0006 00020A81
	s_and_b64 exec, exec, s[6:7]                               // 00000000756C: 86FE067E
	s_cbranch_execz 14                                         // 000000007570: BF88000E <_ZN5aiter10DecodeTopKL19topk_per_row_decodeILi1024ELb0ELi4EEEvPKfPKiPiiii+0x59ac>
	ds_read_b32 v5, v2                                         // 000000007574: D86C0000 05000002
	ds_read_b32 v6, v13                                        // 00000000757C: D86C0000 0600000D
	ds_write_b32 v13, v4 offset:8208                           // 000000007584: D81A2010 0000040D
	ds_write_b32 v2, v3 offset:8208                            // 00000000758C: D81A2010 00000302
	s_waitcnt lgkmcnt(3)                                       // 000000007594: BF8CC37F
	ds_write_b32 v13, v5                                       // 000000007598: D81A0000 0000050D
	s_waitcnt lgkmcnt(3)                                       // 0000000075A0: BF8CC37F
	ds_write_b32 v2, v6                                        // 0000000075A4: D81A0000 00000602
	s_or_b64 exec, exec, s[10:11]                              // 0000000075AC: 87FE0A7E
	s_waitcnt lgkmcnt(0)                                       // 0000000075B0: BF8CC07F
	s_barrier                                                  // 0000000075B4: BF8A0000
	v_xor_b32_e32 v3, 8, v12                                   // 0000000075B8: 2A061888
	v_cmp_gt_u32_e64 s[6:7], v3, v12                           // 0000000075BC: D0CC0006 00021903
	v_lshlrev_b32_e32 v3, 2, v3                                // 0000000075C4: 24060682
	s_and_saveexec_b64 s[16:17], s[6:7]                        // 0000000075C8: BE902006
	s_cbranch_execz 36                                         // 0000000075CC: BF880024 <_ZN5aiter10DecodeTopKL19topk_per_row_decodeILi1024ELb0ELi4EEEvPKfPKiPiiii+0x5a60>
	ds_read_b32 v4, v13 offset:8208                            // 0000000075D0: D86C2010 0400000D
	ds_read_b32 v5, v3 offset:8208                             // 0000000075D8: D86C2010 05000003
	s_waitcnt lgkmcnt(0)                                       // 0000000075E0: BF8CC07F
	v_cmp_lt_f32_e64 s[10:11], v4, v5                          // 0000000075E4: D041000A 00020B04
	s_nop 1                                                    // 0000000075EC: BF800001
	v_cndmask_b32_e64 v6, 0, 1, s[10:11]                       // 0000000075F0: D1000006 00290280
	v_cmp_gt_f32_e64 s[10:11], v4, v5                          // 0000000075F8: D044000A 00020B04
	s_nop 1                                                    // 000000007600: BF800001
	v_cndmask_b32_e64 v7, 0, 1, s[10:11]                       // 000000007604: D1000007 00290280
	v_cndmask_b32_e64 v6, v7, v6, s[14:15]                     // 00000000760C: D1000006 003A0D07
	v_and_b32_e32 v6, 1, v6                                    // 000000007614: 260C0C81
	v_cmp_eq_u32_e64 s[10:11], 1, v6                           // 000000007618: D0CA000A 00020C81
	s_and_b64 exec, exec, s[10:11]                             // 000000007620: 86FE0A7E
	s_cbranch_execz 14                                         // 000000007624: BF88000E <_ZN5aiter10DecodeTopKL19topk_per_row_decodeILi1024ELb0ELi4EEEvPKfPKiPiiii+0x5a60>
	ds_read_b32 v6, v3                                         // 000000007628: D86C0000 06000003
	ds_read_b32 v7, v13                                        // 000000007630: D86C0000 0700000D
	ds_write_b32 v13, v5 offset:8208                           // 000000007638: D81A2010 0000050D
	ds_write_b32 v3, v4 offset:8208                            // 000000007640: D81A2010 00000403
	s_waitcnt lgkmcnt(3)                                       // 000000007648: BF8CC37F
	ds_write_b32 v13, v6                                       // 00000000764C: D81A0000 0000060D
	s_waitcnt lgkmcnt(3)                                       // 000000007654: BF8CC37F
	ds_write_b32 v3, v7                                        // 000000007658: D81A0000 00000703
	s_or_b64 exec, exec, s[16:17]                              // 000000007660: 87FE107E
	s_waitcnt lgkmcnt(0)                                       // 000000007664: BF8CC07F
	s_barrier                                                  // 000000007668: BF8A0000
	v_xor_b32_e32 v4, 4, v12                                   // 00000000766C: 2A081884
	v_cmp_gt_u32_e64 s[10:11], v4, v12                         // 000000007670: D0CC000A 00021904
	v_lshlrev_b32_e32 v4, 2, v4                                // 000000007678: 24080882
	s_and_saveexec_b64 s[18:19], s[10:11]                      // 00000000767C: BE92200A
	s_cbranch_execz 36                                         // 000000007680: BF880024 <_ZN5aiter10DecodeTopKL19topk_per_row_decodeILi1024ELb0ELi4EEEvPKfPKiPiiii+0x5b14>
	ds_read_b32 v5, v13 offset:8208                            // 000000007684: D86C2010 0500000D
	ds_read_b32 v6, v4 offset:8208                             // 00000000768C: D86C2010 06000004
	s_waitcnt lgkmcnt(0)                                       // 000000007694: BF8CC07F
	v_cmp_lt_f32_e64 s[16:17], v5, v6                          // 000000007698: D0410010 00020D05
	s_nop 1                                                    // 0000000076A0: BF800001
	v_cndmask_b32_e64 v7, 0, 1, s[16:17]                       // 0000000076A4: D1000007 00410280
	v_cmp_gt_f32_e64 s[16:17], v5, v6                          // 0000000076AC: D0440010 00020D05
	s_nop 1                                                    // 0000000076B4: BF800001
	v_cndmask_b32_e64 v8, 0, 1, s[16:17]                       // 0000000076B8: D1000008 00410280
	v_cndmask_b32_e64 v7, v8, v7, s[14:15]                     // 0000000076C0: D1000007 003A0F08
	v_and_b32_e32 v7, 1, v7                                    // 0000000076C8: 260E0E81
	v_cmp_eq_u32_e64 s[16:17], 1, v7                           // 0000000076CC: D0CA0010 00020E81
	s_and_b64 exec, exec, s[16:17]                             // 0000000076D4: 86FE107E
	s_cbranch_execz 14                                         // 0000000076D8: BF88000E <_ZN5aiter10DecodeTopKL19topk_per_row_decodeILi1024ELb0ELi4EEEvPKfPKiPiiii+0x5b14>
	ds_read_b32 v7, v4                                         // 0000000076DC: D86C0000 07000004
	ds_read_b32 v8, v13                                        // 0000000076E4: D86C0000 0800000D
	ds_write_b32 v13, v6 offset:8208                           // 0000000076EC: D81A2010 0000060D
	ds_write_b32 v4, v5 offset:8208                            // 0000000076F4: D81A2010 00000504
	s_waitcnt lgkmcnt(3)                                       // 0000000076FC: BF8CC37F
	ds_write_b32 v13, v7                                       // 000000007700: D81A0000 0000070D
	s_waitcnt lgkmcnt(3)                                       // 000000007708: BF8CC37F
	ds_write_b32 v4, v8                                        // 00000000770C: D81A0000 00000804
	s_or_b64 exec, exec, s[18:19]                              // 000000007714: 87FE127E
	s_waitcnt lgkmcnt(0)                                       // 000000007718: BF8CC07F
	s_barrier                                                  // 00000000771C: BF8A0000
	v_xor_b32_e32 v5, 2, v12                                   // 000000007720: 2A0A1882
	v_cmp_gt_u32_e64 s[18:19], v5, v12                         // 000000007724: D0CC0012 00021905
	v_lshlrev_b32_e32 v5, 2, v5                                // 00000000772C: 240A0A82
	s_and_saveexec_b64 s[20:21], s[18:19]                      // 000000007730: BE942012
	s_cbranch_execz 36                                         // 000000007734: BF880024 <_ZN5aiter10DecodeTopKL19topk_per_row_decodeILi1024ELb0ELi4EEEvPKfPKiPiiii+0x5bc8>
	ds_read_b32 v6, v13 offset:8208                            // 000000007738: D86C2010 0600000D
	ds_read_b32 v7, v5 offset:8208                             // 000000007740: D86C2010 07000005
	s_waitcnt lgkmcnt(0)                                       // 000000007748: BF8CC07F
	v_cmp_lt_f32_e64 s[16:17], v6, v7                          // 00000000774C: D0410010 00020F06
	s_nop 1                                                    // 000000007754: BF800001
	v_cndmask_b32_e64 v8, 0, 1, s[16:17]                       // 000000007758: D1000008 00410280
	v_cmp_gt_f32_e64 s[16:17], v6, v7                          // 000000007760: D0440010 00020F06
	s_nop 1                                                    // 000000007768: BF800001
	v_cndmask_b32_e64 v9, 0, 1, s[16:17]                       // 00000000776C: D1000009 00410280
	v_cndmask_b32_e64 v8, v9, v8, s[14:15]                     // 000000007774: D1000008 003A1109
	v_and_b32_e32 v8, 1, v8                                    // 00000000777C: 26101081
	v_cmp_eq_u32_e64 s[16:17], 1, v8                           // 000000007780: D0CA0010 00021081
	s_and_b64 exec, exec, s[16:17]                             // 000000007788: 86FE107E
	s_cbranch_execz 14                                         // 00000000778C: BF88000E <_ZN5aiter10DecodeTopKL19topk_per_row_decodeILi1024ELb0ELi4EEEvPKfPKiPiiii+0x5bc8>
	ds_read_b32 v8, v5                                         // 000000007790: D86C0000 08000005
	ds_read_b32 v9, v13                                        // 000000007798: D86C0000 0900000D
	ds_write_b32 v13, v7 offset:8208                           // 0000000077A0: D81A2010 0000070D
	ds_write_b32 v5, v6 offset:8208                            // 0000000077A8: D81A2010 00000605
	s_waitcnt lgkmcnt(3)                                       // 0000000077B0: BF8CC37F
	ds_write_b32 v13, v8                                       // 0000000077B4: D81A0000 0000080D
	s_waitcnt lgkmcnt(3)                                       // 0000000077BC: BF8CC37F
	ds_write_b32 v5, v9                                        // 0000000077C0: D81A0000 00000905
	s_or_b64 exec, exec, s[20:21]                              // 0000000077C8: 87FE147E
	s_waitcnt lgkmcnt(0)                                       // 0000000077CC: BF8CC07F
	s_barrier                                                  // 0000000077D0: BF8A0000
	v_xor_b32_e32 v6, 1, v12                                   // 0000000077D4: 2A0C1881
	v_cmp_gt_u32_e64 s[16:17], v6, v12                         // 0000000077D8: D0CC0010 00021906
	v_lshlrev_b32_e32 v6, 2, v6                                // 0000000077E0: 240C0C82
	s_and_saveexec_b64 s[24:25], s[16:17]                      // 0000000077E4: BE982010
	s_cbranch_execz 36                                         // 0000000077E8: BF880024 <_ZN5aiter10DecodeTopKL19topk_per_row_decodeILi1024ELb0ELi4EEEvPKfPKiPiiii+0x5c7c>
	ds_read_b32 v7, v13 offset:8208                            // 0000000077EC: D86C2010 0700000D
	ds_read_b32 v8, v6 offset:8208                             // 0000000077F4: D86C2010 08000006
	s_waitcnt lgkmcnt(0)                                       // 0000000077FC: BF8CC07F
	v_cmp_lt_f32_e64 s[20:21], v7, v8                          // 000000007800: D0410014 00021107
	s_nop 1                                                    // 000000007808: BF800001
	v_cndmask_b32_e64 v9, 0, 1, s[20:21]                       // 00000000780C: D1000009 00510280
	v_cmp_gt_f32_e64 s[20:21], v7, v8                          // 000000007814: D0440014 00021107
	s_nop 1                                                    // 00000000781C: BF800001
	v_cndmask_b32_e64 v11, 0, 1, s[20:21]                      // 000000007820: D100000B 00510280
	v_cndmask_b32_e64 v9, v11, v9, s[14:15]                    // 000000007828: D1000009 003A130B
	v_and_b32_e32 v9, 1, v9                                    // 000000007830: 26121281
	v_cmp_eq_u32_e64 s[14:15], 1, v9                           // 000000007834: D0CA000E 00021281
	s_and_b64 exec, exec, s[14:15]                             // 00000000783C: 86FE0E7E
	s_cbranch_execz 14                                         // 000000007840: BF88000E <_ZN5aiter10DecodeTopKL19topk_per_row_decodeILi1024ELb0ELi4EEEvPKfPKiPiiii+0x5c7c>
	ds_read_b32 v9, v6                                         // 000000007844: D86C0000 09000006
	ds_read_b32 v11, v13                                       // 00000000784C: D86C0000 0B00000D
	ds_write_b32 v13, v8 offset:8208                           // 000000007854: D81A2010 0000080D
	ds_write_b32 v6, v7 offset:8208                            // 00000000785C: D81A2010 00000706
	s_waitcnt lgkmcnt(3)                                       // 000000007864: BF8CC37F
	ds_write_b32 v13, v9                                       // 000000007868: D81A0000 0000090D
	s_waitcnt lgkmcnt(3)                                       // 000000007870: BF8CC37F
	ds_write_b32 v6, v11                                       // 000000007874: D81A0000 00000B06
	s_or_b64 exec, exec, s[24:25]                              // 00000000787C: 87FE187E
	s_waitcnt lgkmcnt(0)                                       // 000000007880: BF8CC07F
	s_barrier                                                  // 000000007884: BF8A0000
	v_xor_b32_e32 v7, 0x80, v12                                // 000000007888: 2A0E18FF 00000080
	v_cmp_gt_u32_e64 s[14:15], v7, v12                         // 000000007890: D0CC000E 00021907
	s_and_saveexec_b64 s[20:21], s[14:15]                      // 000000007898: BE94200E
	s_xor_b64 s[20:21], exec, s[20:21]                         // 00000000789C: 8894147E
	s_cbranch_execz 25                                         // 0000000078A0: BF880019 <_ZN5aiter10DecodeTopKL19topk_per_row_decodeILi1024ELb0ELi4EEEvPKfPKiPiiii+0x5d08>
	v_lshlrev_b32_e32 v7, 2, v7                                // 0000000078A4: 240E0E82
	ds_read_b32 v8, v13 offset:8208                            // 0000000078A8: D86C2010 0800000D
	ds_read_b32 v9, v7 offset:8208                             // 0000000078B0: D86C2010 09000007
	s_waitcnt lgkmcnt(0)                                       // 0000000078B8: BF8CC07F
	v_cmp_lt_f32_e64 s[14:15], v8, v9                          // 0000000078BC: D041000E 00021308
	s_and_saveexec_b64 s[24:25], s[14:15]                      // 0000000078C4: BE98200E
	s_cbranch_execz 14                                         // 0000000078C8: BF88000E <_ZN5aiter10DecodeTopKL19topk_per_row_decodeILi1024ELb0ELi4EEEvPKfPKiPiiii+0x5d04>
	ds_read_b32 v11, v7                                        // 0000000078CC: D86C0000 0B000007
	ds_read_b32 v14, v13                                       // 0000000078D4: D86C0000 0E00000D
	ds_write_b32 v13, v9 offset:8208                           // 0000000078DC: D81A2010 0000090D
	ds_write_b32 v7, v8 offset:8208                            // 0000000078E4: D81A2010 00000807
	s_waitcnt lgkmcnt(3)                                       // 0000000078EC: BF8CC37F
	ds_write_b32 v13, v11                                      // 0000000078F0: D81A0000 00000B0D
	s_waitcnt lgkmcnt(3)                                       // 0000000078F8: BF8CC37F
	ds_write_b32 v7, v14                                       // 0000000078FC: D81A0000 00000E07
	s_or_b64 exec, exec, s[24:25]                              // 000000007904: 87FE187E
	s_or_b64 exec, exec, s[20:21]                              // 000000007908: 87FE147E
	s_waitcnt lgkmcnt(0)                                       // 00000000790C: BF8CC07F
	s_barrier                                                  // 000000007910: BF8A0000
	s_and_saveexec_b64 s[14:15], s[0:1]                        // 000000007914: BE8E2000
	s_cbranch_execz 23                                         // 000000007918: BF880017 <_ZN5aiter10DecodeTopKL19topk_per_row_decodeILi1024ELb0ELi4EEEvPKfPKiPiiii+0x5d78>
	ds_read_b32 v7, v13 offset:8208                            // 00000000791C: D86C2010 0700000D
	ds_read_b32 v8, v0 offset:8208                             // 000000007924: D86C2010 08000000
	s_waitcnt lgkmcnt(0)                                       // 00000000792C: BF8CC07F
	v_cmp_lt_f32_e64 s[0:1], v7, v8                            // 000000007930: D0410000 00021107
	s_and_b64 exec, exec, s[0:1]                               // 000000007938: 86FE007E
	s_cbranch_execz 14                                         // 00000000793C: BF88000E <_ZN5aiter10DecodeTopKL19topk_per_row_decodeILi1024ELb0ELi4EEEvPKfPKiPiiii+0x5d78>
	ds_read_b32 v9, v0                                         // 000000007940: D86C0000 09000000
	ds_read_b32 v11, v13                                       // 000000007948: D86C0000 0B00000D
	ds_write_b32 v13, v8 offset:8208                           // 000000007950: D81A2010 0000080D
	ds_write_b32 v0, v7 offset:8208                            // 000000007958: D81A2010 00000700
	s_waitcnt lgkmcnt(3)                                       // 000000007960: BF8CC37F
	ds_write_b32 v13, v9                                       // 000000007964: D81A0000 0000090D
	s_waitcnt lgkmcnt(3)                                       // 00000000796C: BF8CC37F
	ds_write_b32 v0, v11                                       // 000000007970: D81A0000 00000B00
	s_or_b64 exec, exec, s[14:15]                              // 000000007978: 87FE0E7E
	s_waitcnt lgkmcnt(0)                                       // 00000000797C: BF8CC07F
	s_barrier                                                  // 000000007980: BF8A0000
	s_and_saveexec_b64 s[14:15], s[2:3]                        // 000000007984: BE8E2002
	s_cbranch_execz 23                                         // 000000007988: BF880017 <_ZN5aiter10DecodeTopKL19topk_per_row_decodeILi1024ELb0ELi4EEEvPKfPKiPiiii+0x5de8>
	ds_read_b32 v0, v13 offset:8208                            // 00000000798C: D86C2010 0000000D
	ds_read_b32 v7, v1 offset:8208                             // 000000007994: D86C2010 07000001
	s_waitcnt lgkmcnt(0)                                       // 00000000799C: BF8CC07F
	v_cmp_lt_f32_e64 s[0:1], v0, v7                            // 0000000079A0: D0410000 00020F00
	s_and_b64 exec, exec, s[0:1]                               // 0000000079A8: 86FE007E
	s_cbranch_execz 14                                         // 0000000079AC: BF88000E <_ZN5aiter10DecodeTopKL19topk_per_row_decodeILi1024ELb0ELi4EEEvPKfPKiPiiii+0x5de8>
	ds_read_b32 v8, v1                                         // 0000000079B0: D86C0000 08000001
	ds_read_b32 v9, v13                                        // 0000000079B8: D86C0000 0900000D
	ds_write_b32 v13, v7 offset:8208                           // 0000000079C0: D81A2010 0000070D
	ds_write_b32 v1, v0 offset:8208                            // 0000000079C8: D81A2010 00000001
	s_waitcnt lgkmcnt(3)                                       // 0000000079D0: BF8CC37F
	ds_write_b32 v13, v8                                       // 0000000079D4: D81A0000 0000080D
	s_waitcnt lgkmcnt(3)                                       // 0000000079DC: BF8CC37F
	ds_write_b32 v1, v9                                        // 0000000079E0: D81A0000 00000901
	s_or_b64 exec, exec, s[14:15]                              // 0000000079E8: 87FE0E7E
	s_waitcnt lgkmcnt(0)                                       // 0000000079EC: BF8CC07F
	s_barrier                                                  // 0000000079F0: BF8A0000
	s_and_saveexec_b64 s[2:3], s[4:5]                          // 0000000079F4: BE822004
	s_cbranch_execz 23                                         // 0000000079F8: BF880017 <_ZN5aiter10DecodeTopKL19topk_per_row_decodeILi1024ELb0ELi4EEEvPKfPKiPiiii+0x5e58>
	ds_read_b32 v0, v13 offset:8208                            // 0000000079FC: D86C2010 0000000D
	ds_read_b32 v1, v2 offset:8208                             // 000000007A04: D86C2010 01000002
	s_waitcnt lgkmcnt(0)                                       // 000000007A0C: BF8CC07F
	v_cmp_lt_f32_e64 s[0:1], v0, v1                            // 000000007A10: D0410000 00020300
	s_and_b64 exec, exec, s[0:1]                               // 000000007A18: 86FE007E
	s_cbranch_execz 14                                         // 000000007A1C: BF88000E <_ZN5aiter10DecodeTopKL19topk_per_row_decodeILi1024ELb0ELi4EEEvPKfPKiPiiii+0x5e58>
	ds_read_b32 v7, v2                                         // 000000007A20: D86C0000 07000002
	ds_read_b32 v8, v13                                        // 000000007A28: D86C0000 0800000D
	ds_write_b32 v13, v1 offset:8208                           // 000000007A30: D81A2010 0000010D
	ds_write_b32 v2, v0 offset:8208                            // 000000007A38: D81A2010 00000002
	s_waitcnt lgkmcnt(3)                                       // 000000007A40: BF8CC37F
	ds_write_b32 v13, v7                                       // 000000007A44: D81A0000 0000070D
	s_waitcnt lgkmcnt(3)                                       // 000000007A4C: BF8CC37F
	ds_write_b32 v2, v8                                        // 000000007A50: D81A0000 00000802
	s_or_b64 exec, exec, s[2:3]                                // 000000007A58: 87FE027E
	s_waitcnt lgkmcnt(0)                                       // 000000007A5C: BF8CC07F
	s_barrier                                                  // 000000007A60: BF8A0000
	s_and_saveexec_b64 s[2:3], s[6:7]                          // 000000007A64: BE822006
	s_cbranch_execz 23                                         // 000000007A68: BF880017 <_ZN5aiter10DecodeTopKL19topk_per_row_decodeILi1024ELb0ELi4EEEvPKfPKiPiiii+0x5ec8>
	ds_read_b32 v0, v13 offset:8208                            // 000000007A6C: D86C2010 0000000D
	ds_read_b32 v1, v3 offset:8208                             // 000000007A74: D86C2010 01000003
	s_waitcnt lgkmcnt(0)                                       // 000000007A7C: BF8CC07F
	v_cmp_lt_f32_e64 s[0:1], v0, v1                            // 000000007A80: D0410000 00020300
	s_and_b64 exec, exec, s[0:1]                               // 000000007A88: 86FE007E
	s_cbranch_execz 14                                         // 000000007A8C: BF88000E <_ZN5aiter10DecodeTopKL19topk_per_row_decodeILi1024ELb0ELi4EEEvPKfPKiPiiii+0x5ec8>
	ds_read_b32 v2, v3                                         // 000000007A90: D86C0000 02000003
	ds_read_b32 v7, v13                                        // 000000007A98: D86C0000 0700000D
	ds_write_b32 v13, v1 offset:8208                           // 000000007AA0: D81A2010 0000010D
	ds_write_b32 v3, v0 offset:8208                            // 000000007AA8: D81A2010 00000003
	s_waitcnt lgkmcnt(3)                                       // 000000007AB0: BF8CC37F
	ds_write_b32 v13, v2                                       // 000000007AB4: D81A0000 0000020D
	s_waitcnt lgkmcnt(3)                                       // 000000007ABC: BF8CC37F
	ds_write_b32 v3, v7                                        // 000000007AC0: D81A0000 00000703
	s_or_b64 exec, exec, s[2:3]                                // 000000007AC8: 87FE027E
	s_waitcnt lgkmcnt(0)                                       // 000000007ACC: BF8CC07F
	s_barrier                                                  // 000000007AD0: BF8A0000
	s_and_saveexec_b64 s[2:3], s[10:11]                        // 000000007AD4: BE82200A
	s_cbranch_execz 23                                         // 000000007AD8: BF880017 <_ZN5aiter10DecodeTopKL19topk_per_row_decodeILi1024ELb0ELi4EEEvPKfPKiPiiii+0x5f38>
	ds_read_b32 v0, v13 offset:8208                            // 000000007ADC: D86C2010 0000000D
	ds_read_b32 v1, v4 offset:8208                             // 000000007AE4: D86C2010 01000004
	s_waitcnt lgkmcnt(0)                                       // 000000007AEC: BF8CC07F
	v_cmp_lt_f32_e64 s[0:1], v0, v1                            // 000000007AF0: D0410000 00020300
	s_and_b64 exec, exec, s[0:1]                               // 000000007AF8: 86FE007E
	s_cbranch_execz 14                                         // 000000007AFC: BF88000E <_ZN5aiter10DecodeTopKL19topk_per_row_decodeILi1024ELb0ELi4EEEvPKfPKiPiiii+0x5f38>
	ds_read_b32 v2, v4                                         // 000000007B00: D86C0000 02000004
	ds_read_b32 v3, v13                                        // 000000007B08: D86C0000 0300000D
	ds_write_b32 v13, v1 offset:8208                           // 000000007B10: D81A2010 0000010D
	ds_write_b32 v4, v0 offset:8208                            // 000000007B18: D81A2010 00000004
	s_waitcnt lgkmcnt(3)                                       // 000000007B20: BF8CC37F
	ds_write_b32 v13, v2                                       // 000000007B24: D81A0000 0000020D
	s_waitcnt lgkmcnt(3)                                       // 000000007B2C: BF8CC37F
	ds_write_b32 v4, v3                                        // 000000007B30: D81A0000 00000304
	s_or_b64 exec, exec, s[2:3]                                // 000000007B38: 87FE027E
	s_waitcnt lgkmcnt(0)                                       // 000000007B3C: BF8CC07F
	s_barrier                                                  // 000000007B40: BF8A0000
	s_and_saveexec_b64 s[2:3], s[18:19]                        // 000000007B44: BE822012
	s_cbranch_execz 23                                         // 000000007B48: BF880017 <_ZN5aiter10DecodeTopKL19topk_per_row_decodeILi1024ELb0ELi4EEEvPKfPKiPiiii+0x5fa8>
	ds_read_b32 v0, v13 offset:8208                            // 000000007B4C: D86C2010 0000000D
	ds_read_b32 v1, v5 offset:8208                             // 000000007B54: D86C2010 01000005
	s_waitcnt lgkmcnt(0)                                       // 000000007B5C: BF8CC07F
	v_cmp_lt_f32_e64 s[0:1], v0, v1                            // 000000007B60: D0410000 00020300
	s_and_b64 exec, exec, s[0:1]                               // 000000007B68: 86FE007E
	s_cbranch_execz 14                                         // 000000007B6C: BF88000E <_ZN5aiter10DecodeTopKL19topk_per_row_decodeILi1024ELb0ELi4EEEvPKfPKiPiiii+0x5fa8>
	ds_read_b32 v2, v5                                         // 000000007B70: D86C0000 02000005
	ds_read_b32 v3, v13                                        // 000000007B78: D86C0000 0300000D
	ds_write_b32 v13, v1 offset:8208                           // 000000007B80: D81A2010 0000010D
	ds_write_b32 v5, v0 offset:8208                            // 000000007B88: D81A2010 00000005
	s_waitcnt lgkmcnt(3)                                       // 000000007B90: BF8CC37F
	ds_write_b32 v13, v2                                       // 000000007B94: D81A0000 0000020D
	s_waitcnt lgkmcnt(3)                                       // 000000007B9C: BF8CC37F
	ds_write_b32 v5, v3                                        // 000000007BA0: D81A0000 00000305
	s_or_b64 exec, exec, s[2:3]                                // 000000007BA8: 87FE027E
	s_waitcnt lgkmcnt(0)                                       // 000000007BAC: BF8CC07F
	s_barrier                                                  // 000000007BB0: BF8A0000
	s_and_saveexec_b64 s[2:3], s[16:17]                        // 000000007BB4: BE822010
	s_cbranch_execz 23                                         // 000000007BB8: BF880017 <_ZN5aiter10DecodeTopKL19topk_per_row_decodeILi1024ELb0ELi4EEEvPKfPKiPiiii+0x6018>
	ds_read_b32 v0, v13 offset:8208                            // 000000007BBC: D86C2010 0000000D
	ds_read_b32 v1, v6 offset:8208                             // 000000007BC4: D86C2010 01000006
	s_waitcnt lgkmcnt(0)                                       // 000000007BCC: BF8CC07F
	v_cmp_lt_f32_e64 s[0:1], v0, v1                            // 000000007BD0: D0410000 00020300
	s_and_b64 exec, exec, s[0:1]                               // 000000007BD8: 86FE007E
	s_cbranch_execz 14                                         // 000000007BDC: BF88000E <_ZN5aiter10DecodeTopKL19topk_per_row_decodeILi1024ELb0ELi4EEEvPKfPKiPiiii+0x6018>
	ds_read_b32 v2, v6                                         // 000000007BE0: D86C0000 02000006
	ds_read_b32 v3, v13                                        // 000000007BE8: D86C0000 0300000D
	ds_write_b32 v13, v1 offset:8208                           // 000000007BF0: D81A2010 0000010D
	ds_write_b32 v6, v0 offset:8208                            // 000000007BF8: D81A2010 00000006
	s_waitcnt lgkmcnt(3)                                       // 000000007C00: BF8CC37F
	ds_write_b32 v13, v2                                       // 000000007C04: D81A0000 0000020D
	s_waitcnt lgkmcnt(3)                                       // 000000007C0C: BF8CC37F
	ds_write_b32 v6, v3                                        // 000000007C10: D81A0000 00000306
	s_or_b64 exec, exec, s[2:3]                                // 000000007C18: 87FE027E
	s_waitcnt lgkmcnt(0)                                       // 000000007C1C: BF8CC07F
	s_barrier                                                  // 000000007C20: BF8A0000
	s_and_b64 exec, exec, vcc                                  // 000000007C24: 86FE6A7E
	s_cbranch_execz 11                                         // 000000007C28: BF88000B <_ZN5aiter10DecodeTopKL19topk_per_row_decodeILi1024ELb0ELi4EEEvPKfPKiPiiii+0x6058>
	v_add_u32_e32 v0, v10, v12                                 // 000000007C2C: 6800190A
	s_movk_i32 s0, 0x800                                       // 000000007C30: B0000800
	v_cmp_gt_i32_e32 vcc, s0, v0                               // 000000007C34: 7D880000
	s_and_b64 exec, exec, vcc                                  // 000000007C38: 86FE6A7E
	s_cbranch_execz 6                                          // 000000007C3C: BF880006 <_ZN5aiter10DecodeTopKL19topk_per_row_decodeILi1024ELb0ELi4EEEvPKfPKiPiiii+0x6058>
	ds_read_b32 v1, v13                                        // 000000007C40: D86C0000 0100000D
	v_lshlrev_b32_e32 v0, 2, v0                                // 000000007C48: 24000082
	s_waitcnt lgkmcnt(0)                                       // 000000007C4C: BF8CC07F
	ds_write_b32 v0, v1 offset:16448                           // 000000007C50: D81A4040 00000100
	s_or_b64 exec, exec, s[22:23]                              // 000000007C58: 87FE167E
	s_lshl_b32 s0, s36, 2                                      // 000000007C5C: 8E008224
	s_waitcnt lgkmcnt(0)                                       // 000000007C60: BF8CC07F
	s_barrier                                                  // 000000007C64: BF8A0000
	s_sub_i32 s0, 0x800, s0                                    // 000000007C68: 818000FF 00000800
	s_ashr_i32 s0, s0, 2                                       // 000000007C70: 90008200
	v_cmp_gt_u32_e32 vcc, s0, v12                              // 000000007C74: 7D981800
	s_and_saveexec_b64 s[0:1], vcc                             // 000000007C78: BE80206A
	s_cbranch_execz 11                                         // 000000007C7C: BF88000B <_ZN5aiter10DecodeTopKL19topk_per_row_decodeILi1024ELb0ELi4EEEvPKfPKiPiiii+0x60ac>
	v_add_u32_e32 v4, s36, v12                                 // 000000007C80: 68081824
	v_lshlrev_b32_e32 v0, 4, v4                                // 000000007C84: 24000884
	ds_read_b128 v[0:3], v0 offset:16448                       // 000000007C88: D9FE4040 00000000
	v_lshlrev_b32_e32 v4, 2, v4                                // 000000007C90: 24080882
	v_ashrrev_i32_e32 v5, 31, v4                               // 000000007C94: 220A089F
	v_lshl_add_u64 v[4:5], v[4:5], 2, s[30:31]                 // 000000007C98: D2080004 00790504
	s_waitcnt lgkmcnt(0)                                       // 000000007CA0: BF8CC07F
	global_store_dwordx4 v[4:5], v[0:3], off                   // 000000007CA4: DC7C8000 007F0004
	s_or_b64 exec, exec, s[0:1]                                // 000000007CAC: 87FE007E
	s_mov_b64 s[2:3], 0                                        // 000000007CB0: BE820180
	s_and_b64 vcc, exec, s[2:3]                                // 000000007CB4: 86EA027E
	s_cbranch_vccz 184                                         // 000000007CB8: BF8600B8 <_ZN5aiter10DecodeTopKL19topk_per_row_decodeILi1024ELb0ELi4EEEvPKfPKiPiiii+0x639c>
	v_cmp_gt_i32_e32 vcc, s40, v12                             // 000000007CBC: 7D881828
	s_and_saveexec_b64 s[0:1], vcc                             // 000000007CC0: BE80206A
	s_cbranch_execz 87                                         // 000000007CC4: BF880057 <_ZN5aiter10DecodeTopKL19topk_per_row_decodeILi1024ELb0ELi4EEEvPKfPKiPiiii+0x6224>
	s_add_i32 s2, s13, s33                                     // 000000007CC8: 8102210D
	v_add_u32_e32 v0, s12, v12                                 // 000000007CCC: 6800180C
	v_sub_u32_e32 v1, s2, v0                                   // 000000007CD0: 6A020002
	s_movk_i32 s2, 0xbff                                       // 000000007CD4: B0020BFF
	v_cmp_lt_u32_e32 vcc, s2, v1                               // 000000007CD8: 7D920202
	s_mov_b64 s[4:5], -1                                       // 000000007CDC: BE8401C1
	v_mov_b32_e32 v0, v12                                      // 000000007CE0: 7E00030C
	s_and_saveexec_b64 s[2:3], vcc                             // 000000007CE4: BE82206A
	s_cbranch_execz 57                                         // 000000007CE8: BF880039 <_ZN5aiter10DecodeTopKL19topk_per_row_decodeILi1024ELb0ELi4EEEvPKfPKiPiiii+0x61d0>
	v_lshrrev_b32_e32 v0, 10, v1                               // 000000007CEC: 2000028A
	v_add_u32_e32 v4, 1, v0                                    // 000000007CF0: 68080081
	v_and_b32_e32 v5, 0x7ffffc, v4                             // 000000007CF4: 260A08FF 007FFFFC
	v_or_b32_e32 v13, 0x400, v12                               // 000000007CFC: 281A18FF 00000400
	s_mov_b64 s[4:5], 0                                        // 000000007D04: BE840180
	v_mov_b32_e32 v1, 0                                        // 000000007D08: 7E020280
	v_mov_b32_e32 v6, v5                                       // 000000007D0C: 7E0C0305
	v_mov_b32_e32 v7, v12                                      // 000000007D10: 7E0E030C
	v_mov_b64_e32 v[2:3], v[12:13]                             // 000000007D14: 7E04710C
	v_add_u32_e32 v8, 0x800, v3                                // 000000007D18: 681006FF 00000800
	v_add_u32_e32 v10, 0x800, v2                               // 000000007D20: 681404FF 00000800
	v_add_u32_e32 v13, 0x400, v7                               // 000000007D28: 681A0EFF 00000400
	v_add_u32_e32 v18, 0x800, v7                               // 000000007D30: 68240EFF 00000800
	v_add_u32_e32 v19, 0xc00, v7                               // 000000007D38: 68260EFF 00000C00
	v_mov_b32_e32 v0, v2                                       // 000000007D40: 7E000302
	v_mov_b32_e32 v11, v1                                      // 000000007D44: 7E160301
	v_mov_b32_e32 v9, v1                                       // 000000007D48: 7E120301
	v_add_u32_e32 v2, 0x1000, v2                               // 000000007D4C: 680404FF 00001000
	v_add_u32_e32 v6, -4, v6                                   // 000000007D54: 680C0CC4
	v_lshl_add_u64 v[14:15], v[0:1], 2, s[30:31]               // 000000007D58: D208000E 00790500
	v_mov_b32_e32 v0, v3                                       // 000000007D60: 7E000303
	v_lshl_add_u64 v[10:11], v[10:11], 2, s[30:31]             // 000000007D64: D208000A 0079050A
	v_lshl_add_u64 v[8:9], v[8:9], 2, s[30:31]                 // 000000007D6C: D2080008 00790508
	v_add_u32_e32 v3, 0x1000, v3                               // 000000007D74: 680606FF 00001000
	v_cmp_eq_u32_e32 vcc, 0, v6                                // 000000007D7C: 7D940C80
	v_lshl_add_u64 v[16:17], v[0:1], 2, s[30:31]               // 000000007D80: D2080010 00790500
	global_store_dword v[14:15], v7, off                       // 000000007D88: DC708000 007F070E
	v_add_u32_e32 v7, 0x1000, v7                               // 000000007D90: 680E0EFF 00001000
	s_or_b64 s[4:5], vcc, s[4:5]                               // 000000007D98: 8784046A
	global_store_dword v[16:17], v13, off                      // 000000007D9C: DC708000 007F0D10
	global_store_dword v[10:11], v18, off                      // 000000007DA4: DC708000 007F120A
	global_store_dword v[8:9], v19, off                        // 000000007DAC: DC708000 007F1308
	s_andn2_b64 exec, exec, s[4:5]                             // 000000007DB4: 89FE047E
	s_cbranch_execnz 65495                                     // 000000007DB8: BF89FFD7 <_ZN5aiter10DecodeTopKL19topk_per_row_decodeILi1024ELb0ELi4EEEvPKfPKiPiiii+0x6118>
	s_or_b64 exec, exec, s[4:5]                                // 000000007DBC: 87FE047E
	v_lshl_or_b32 v0, v5, 10, v12                              // 000000007DC0: D2000000 04311505
	v_cmp_ne_u32_e32 vcc, v4, v5                               // 000000007DC8: 7D9A0B04
	s_orn2_b64 s[4:5], vcc, exec                               // 000000007DCC: 8A847E6A
	s_or_b64 exec, exec, s[2:3]                                // 000000007DD0: 87FE027E
	s_and_b64 exec, exec, s[4:5]                               // 000000007DD4: 86FE047E
	s_cbranch_execz 18                                         // 000000007DD8: BF880012 <_ZN5aiter10DecodeTopKL19topk_per_row_decodeILi1024ELb0ELi4EEEvPKfPKiPiiii+0x6224>
	v_mov_b32_e32 v1, 0                                        // 000000007DDC: 7E020280
	s_add_u32 s2, s8, s28                                      // 000000007DE0: 80021C08
	s_addc_u32 s3, s9, s29                                     // 000000007DE4: 82031D09
	v_lshl_add_u64 v[2:3], v[0:1], 2, s[2:3]                   // 000000007DE8: D2080002 00090500
	s_mov_b64 s[2:3], 0                                        // 000000007DF0: BE820180
	s_mov_b64 s[4:5], 0x1000                                   // 000000007DF4: BE8401FF 00001000
	global_store_dword v[2:3], v0, off                         // 000000007DFC: DC708000 007F0002
	v_add_u32_e32 v0, 0x400, v0                                // 000000007E04: 680000FF 00000400
	v_cmp_le_i32_e32 vcc, s40, v0                              // 000000007E0C: 7D860028
	s_or_b64 s[2:3], vcc, s[2:3]                               // 000000007E10: 8782026A
	v_lshl_add_u64 v[2:3], v[2:3], 0, s[4:5]                   // 000000007E14: D2080002 00110102
	s_andn2_b64 exec, exec, s[2:3]                             // 000000007E1C: 89FE027E
	s_cbranch_execnz 65526                                     // 000000007E20: BF89FFF6 <_ZN5aiter10DecodeTopKL19topk_per_row_decodeILi1024ELb0ELi4EEEvPKfPKiPiiii+0x61fc>
	s_or_b64 exec, exec, s[0:1]                                // 000000007E24: 87FE007E
	v_add_u32_e32 v0, s40, v12                                 // 000000007E28: 68001828
	s_movk_i32 s0, 0x800                                       // 000000007E2C: B0000800
	v_cmp_gt_i32_e32 vcc, s0, v0                               // 000000007E30: 7D880000
	s_and_saveexec_b64 s[0:1], vcc                             // 000000007E34: BE80206A
	s_cbranch_execz 88                                         // 000000007E38: BF880058 <_ZN5aiter10DecodeTopKL19topk_per_row_decodeILi1024ELb0ELi4EEEvPKfPKiPiiii+0x639c>
	v_max_i32_e32 v1, 0x400, v0                                // 000000007E3C: 1A0200FF 00000400
	v_add_u32_e32 v1, s12, v1                                  // 000000007E44: 6802020C
	s_add_i32 s33, s33, s13                                    // 000000007E48: 81210D21
	v_add_u32_e32 v2, s33, v12                                 // 000000007E4C: 68041821
	v_sub_u32_e32 v1, v1, v2                                   // 000000007E50: 6A020501
	v_add_u32_e32 v1, 0x3fe, v1                                // 000000007E54: 680202FF 000003FE
	s_movk_i32 s0, 0xbff                                       // 000000007E5C: B0000BFF
	v_cmp_lt_u32_e32 vcc, s0, v1                               // 000000007E60: 7D920200
	s_mov_b64 s[2:3], -1                                       // 000000007E64: BE8201C1
	s_and_saveexec_b64 s[0:1], vcc                             // 000000007E68: BE80206A
	s_cbranch_execz 50                                         // 000000007E6C: BF880032 <_ZN5aiter10DecodeTopKL19topk_per_row_decodeILi1024ELb0ELi4EEEvPKfPKiPiiii+0x6338>
	v_lshrrev_b32_e32 v1, 10, v1                               // 000000007E70: 2002028A
	v_add_u32_e32 v4, 1, v1                                    // 000000007E74: 68080281
	v_and_b32_e32 v5, 0x7ffffc, v4                             // 000000007E78: 260A08FF 007FFFFC
	v_add_u32_e32 v1, 0x400, v0                                // 000000007E80: 680200FF 00000400
	s_mov_b64 s[2:3], 0                                        // 000000007E88: BE820180
	v_mov_b32_e32 v6, -1                                       // 000000007E8C: 7E0C02C1
	v_mov_b32_e32 v7, v5                                       // 000000007E90: 7E0E0305
	v_mov_b64_e32 v[2:3], v[0:1]                               // 000000007E94: 7E047100
	v_add_u32_e32 v8, 0x800, v2                                // 000000007E98: 681004FF 00000800
	v_add_u32_e32 v10, 0x800, v3                               // 000000007EA0: 681406FF 00000800
	v_ashrrev_i32_e32 v13, 31, v3                              // 000000007EA8: 221A069F
	v_mov_b32_e32 v12, v3                                      // 000000007EAC: 7E180303
	v_ashrrev_i32_e32 v15, 31, v2                              // 000000007EB0: 221E049F
	v_mov_b32_e32 v14, v2                                      // 000000007EB4: 7E1C0302
	v_add_u32_e32 v3, 0x1000, v3                               // 000000007EB8: 680606FF 00001000
	v_add_u32_e32 v2, 0x1000, v2                               // 000000007EC0: 680404FF 00001000
	v_add_u32_e32 v7, -4, v7                                   // 000000007EC8: 680E0EC4
	v_ashrrev_i32_e32 v11, 31, v10                             // 000000007ECC: 2216149F
	v_ashrrev_i32_e32 v9, 31, v8                               // 000000007ED0: 2212109F
	v_lshl_add_u64 v[14:15], v[14:15], 2, s[30:31]             // 000000007ED4: D208000E 0079050E
	v_lshl_add_u64 v[12:13], v[12:13], 2, s[30:31]             // 000000007EDC: D208000C 0079050C
	v_cmp_eq_u32_e32 vcc, 0, v7                                // 000000007EE4: 7D940E80
	v_lshl_add_u64 v[8:9], v[8:9], 2, s[30:31]                 // 000000007EE8: D2080008 00790508
	v_lshl_add_u64 v[10:11], v[10:11], 2, s[30:31]             // 000000007EF0: D208000A 0079050A
	global_store_dword v[14:15], v6, off                       // 000000007EF8: DC708000 007F060E
	global_store_dword v[12:13], v6, off                       // 000000007F00: DC708000 007F060C
	s_or_b64 s[2:3], vcc, s[2:3]                               // 000000007F08: 8782026A
	global_store_dword v[8:9], v6, off                         // 000000007F0C: DC708000 007F0608
	global_store_dword v[10:11], v6, off                       // 000000007F14: DC708000 007F060A
	s_andn2_b64 exec, exec, s[2:3]                             // 000000007F1C: 89FE027E
	s_cbranch_execnz 65501                                     // 000000007F20: BF89FFDD <_ZN5aiter10DecodeTopKL19topk_per_row_decodeILi1024ELb0ELi4EEEvPKfPKiPiiii+0x6298>
	s_or_b64 exec, exec, s[2:3]                                // 000000007F24: 87FE027E
	v_lshl_add_u32 v0, v5, 10, v0                              // 000000007F28: D1FD0000 04011505
	v_cmp_ne_u32_e32 vcc, v4, v5                               // 000000007F30: 7D9A0B04
	s_orn2_b64 s[2:3], vcc, exec                               // 000000007F34: 8A827E6A
	s_or_b64 exec, exec, s[0:1]                                // 000000007F38: 87FE007E
	s_and_b64 exec, exec, s[2:3]                               // 000000007F3C: 86FE027E
	s_cbranch_execz 22                                         // 000000007F40: BF880016 <_ZN5aiter10DecodeTopKL19topk_per_row_decodeILi1024ELb0ELi4EEEvPKfPKiPiiii+0x639c>
	v_add_u32_e32 v2, 0xfffffc00, v0                           // 000000007F44: 680400FF FFFFFC00
	v_ashrrev_i32_e32 v1, 31, v0                               // 000000007F4C: 2202009F
	s_add_u32 s0, s8, s28                                      // 000000007F50: 80001C08
	s_addc_u32 s1, s9, s29                                     // 000000007F54: 82011D09
	v_lshl_add_u64 v[0:1], v[0:1], 2, s[0:1]                   // 000000007F58: D2080000 00010500
	s_mov_b64 s[0:1], 0                                        // 000000007F60: BE800180
	v_mov_b32_e32 v3, -1                                       // 000000007F64: 7E0602C1
	s_mov_b64 s[2:3], 0x1000                                   // 000000007F68: BE8201FF 00001000
	s_movk_i32 s4, 0x3ff                                       // 000000007F70: B00403FF
	global_store_dword v[0:1], v3, off                         // 000000007F74: DC708000 007F0300
	v_add_u32_e32 v2, 0x400, v2                                // 000000007F7C: 680404FF 00000400
	v_cmp_lt_i32_e32 vcc, s4, v2                               // 000000007F84: 7D820404
	s_or_b64 s[0:1], vcc, s[0:1]                               // 000000007F88: 8780006A
	v_lshl_add_u64 v[0:1], v[0:1], 0, s[2:3]                   // 000000007F8C: D2080000 00090100
	s_andn2_b64 exec, exec, s[0:1]                             // 000000007F94: 89FE007E
	s_cbranch_execnz 65526                                     // 000000007F98: BF89FFF6 <_ZN5aiter10DecodeTopKL19topk_per_row_decodeILi1024ELb0ELi4EEEvPKfPKiPiiii+0x6374>
	s_endpgm                                                   // 000000007F9C: BF810000
